;; amdgpu-corpus repo=ROCm/rocBLAS kind=compiled arch=gfx1201 opt=O3
	.amdgcn_target "amdgcn-amd-amdhsa--gfx1201"
	.amdhsa_code_object_version 6
	.section	.text._ZL34rocblas_ger_double_buffered_kernelILb0ELi128ELi8ELi8Ef24rocblas_internal_val_ptrIfEPKfPfEvbiiT4_lT5_lllS6_lllT6_lmli,"axG",@progbits,_ZL34rocblas_ger_double_buffered_kernelILb0ELi128ELi8ELi8Ef24rocblas_internal_val_ptrIfEPKfPfEvbiiT4_lT5_lllS6_lllT6_lmli,comdat
	.globl	_ZL34rocblas_ger_double_buffered_kernelILb0ELi128ELi8ELi8Ef24rocblas_internal_val_ptrIfEPKfPfEvbiiT4_lT5_lllS6_lllT6_lmli ; -- Begin function _ZL34rocblas_ger_double_buffered_kernelILb0ELi128ELi8ELi8Ef24rocblas_internal_val_ptrIfEPKfPfEvbiiT4_lT5_lllS6_lllT6_lmli
	.p2align	8
	.type	_ZL34rocblas_ger_double_buffered_kernelILb0ELi128ELi8ELi8Ef24rocblas_internal_val_ptrIfEPKfPfEvbiiT4_lT5_lllS6_lllT6_lmli,@function
_ZL34rocblas_ger_double_buffered_kernelILb0ELi128ELi8ELi8Ef24rocblas_internal_val_ptrIfEPKfPfEvbiiT4_lT5_lllS6_lllT6_lmli: ; @_ZL34rocblas_ger_double_buffered_kernelILb0ELi128ELi8ELi8Ef24rocblas_internal_val_ptrIfEPKfPfEvbiiT4_lT5_lllS6_lllT6_lmli
; %bb.0:
	s_load_b32 s33, s[0:1], 0x80
	s_lshr_b32 s2, ttmp7, 16
	s_wait_kmcnt 0x0
	s_cmp_ge_u32 s2, s33
	s_cbranch_scc1 .LBB0_7
; %bb.1:
	v_lshrrev_b32_e32 v1, 3, v0
	v_and_b32_e32 v2, 0x3ff, v0
	s_clause 0x4
	s_load_b256 s[4:11], s[0:1], 0x58
	s_load_b128 s[24:27], s[0:1], 0x28
	s_load_b256 s[12:19], s[0:1], 0x38
	s_load_b32 s3, s[0:1], 0x0
	s_load_b64 s[30:31], s[0:1], 0x20
	v_and_b32_e32 v1, 0x1ff80, v1
	v_and_b32_e32 v8, 63, v0
	s_clause 0x1
	s_load_b128 s[20:23], s[0:1], 0x10
	s_load_b64 s[28:29], s[0:1], 0x78
	v_add_nc_u32_e32 v1, v1, v2
	v_or_b32_e32 v7, 64, v8
	s_delay_alu instid0(VALU_DEP_2) | instskip(NEXT) | instid1(VALU_DEP_1)
	v_lshrrev_b32_e32 v19, 3, v1
	v_and_b32_e32 v22, 0x7ff8, v19
	s_wait_kmcnt 0x0
	v_mad_co_u64_u32 v[2:3], null, s26, v8, 0
	s_bitcmp1_b32 s3, 0
	s_mov_b32 s3, 0
	v_mad_co_u64_u32 v[0:1], null, s10, v22, 0
	s_cselect_b32 s34, -1, 0
	s_lshl_b64 s[0:1], s[24:25], 2
	s_lshl_b64 s[8:9], s[8:9], 2
	s_lshl_b32 s24, ttmp9, 7
	s_and_b32 s35, ttmp7, 0xffff
	s_lshl_b64 s[16:17], s[16:17], 2
	v_mad_co_u64_u32 v[4:5], null, s11, v22, v[1:2]
	v_mad_co_u64_u32 v[5:6], null, s26, v7, 0
	s_add_nc_u64 s[6:7], s[6:7], s[8:9]
	s_ashr_i32 s25, s24, 31
	s_lshl_b32 s8, s35, 7
	s_mov_b32 s9, s3
	v_mov_b32_e32 v1, v4
	s_add_nc_u64 s[0:1], s[30:31], s[0:1]
	s_add_nc_u64 s[14:15], s[14:15], s[16:17]
	s_lshl_b64 s[16:17], s[24:25], 2
	s_mul_u64 s[30:31], s[10:11], s[8:9]
	v_mad_co_u64_u32 v[3:4], null, s27, v8, v[3:4]
	v_lshlrev_b64_e32 v[0:1], 2, v[0:1]
	v_mov_b32_e32 v4, v6
	s_add_nc_u64 s[6:7], s[6:7], s[16:17]
	s_lshl_b64 s[16:17], s[30:31], 2
	v_or_b32_e32 v18, 2, v22
	s_add_nc_u64 s[16:17], s[6:7], s[16:17]
	v_mad_co_u64_u32 v[6:7], null, s27, v7, v[4:5]
	v_lshlrev_b32_e32 v4, 2, v8
	v_add_co_u32 v0, vcc_lo, s16, v0
	s_delay_alu instid0(VALU_DEP_1) | instskip(SKIP_1) | instid1(VALU_DEP_3)
	v_add_co_ci_u32_e64 v1, null, s17, v1, vcc_lo
	v_mad_co_u64_u32 v[7:8], null, s18, v22, 0
	v_add_co_u32 v20, vcc_lo, v0, v4
	v_or_b32_e32 v4, 1, v22
	v_mad_co_u64_u32 v[11:12], null, s18, v18, 0
	v_or_b32_e32 v28, 3, v22
	s_wait_alu 0xfffd
	v_add_co_ci_u32_e64 v21, null, 0, v1, vcc_lo
	v_mad_co_u64_u32 v[9:10], null, s18, v4, 0
	v_mov_b32_e32 v0, v8
	v_mad_co_u64_u32 v[13:14], null, s18, v28, 0
	s_mul_u64 s[6:7], s[26:27], s[24:25]
	s_mul_u64 s[8:9], s[18:19], s[8:9]
	s_lshl_b64 s[6:7], s[6:7], 2
	v_mov_b32_e32 v1, v10
	s_add_nc_u64 s[6:7], s[0:1], s[6:7]
	s_lshl_b64 s[0:1], s[8:9], 2
	s_mul_u64 s[16:17], s[10:11], 3
	s_add_nc_u64 s[8:9], s[14:15], s[0:1]
	v_mad_co_u64_u32 v[15:16], null, s19, v22, v[0:1]
	v_mov_b32_e32 v0, v12
	v_mad_co_u64_u32 v[16:17], null, s19, v4, v[1:2]
	s_lshl_b64 s[0:1], s[10:11], 1
	s_lshl_b64 s[14:15], s[10:11], 2
	v_mad_co_u64_u32 v[0:1], null, s19, v18, v[0:1]
	v_mov_b32_e32 v1, v14
	v_or_b32_e32 v8, 4, v22
	v_or_b32_e32 v10, 5, v22
	;; [unrolled: 1-line block ×4, first 2 shown]
	s_mul_u64 s[24:25], s[10:11], 5
	v_mad_co_u64_u32 v[17:18], null, s18, v8, 0
	v_mad_co_u64_u32 v[22:23], null, s18, v10, 0
	v_mad_co_u64_u32 v[24:25], null, s18, v12, 0
	v_mad_co_u64_u32 v[26:27], null, s18, v14, 0
	s_delay_alu instid0(VALU_DEP_4) | instskip(SKIP_3) | instid1(VALU_DEP_3)
	v_mov_b32_e32 v4, v18
	v_mad_co_u64_u32 v[18:19], null, s19, v28, v[1:2]
	v_mov_b32_e32 v1, v23
	s_mul_u64 s[26:27], s[10:11], 6
	v_mad_co_u64_u32 v[28:29], null, s19, v8, v[4:5]
	v_mov_b32_e32 v4, v25
	v_mov_b32_e32 v8, v27
	v_mad_co_u64_u32 v[29:30], null, s19, v10, v[1:2]
	s_mul_u64 s[30:31], s[10:11], 7
	v_mad_co_u64_u32 v[30:31], null, s19, v12, v[4:5]
	v_mad_co_u64_u32 v[31:32], null, s19, v14, v[8:9]
	s_xor_b32 s10, s34, -1
	v_mov_b32_e32 v8, v15
	v_mov_b32_e32 v10, v16
	;; [unrolled: 1-line block ×4, first 2 shown]
	v_dual_mov_b32 v18, v28 :: v_dual_mov_b32 v23, v29
	v_mov_b32_e32 v25, v30
	v_mov_b32_e32 v27, v31
	s_wait_alu 0xfffe
	v_cndmask_b32_e64 v28, 0, 1, s10
	v_lshlrev_b64_e32 v[0:1], 2, v[2:3]
	v_lshlrev_b64_e32 v[2:3], 2, v[5:6]
	;; [unrolled: 1-line block ×10, first 2 shown]
	s_lshl_b64 s[10:11], s[0:1], 2
	v_cmp_ne_u32_e64 s0, 1, v28
	s_lshl_b64 s[16:17], s[16:17], 2
	s_lshl_b64 s[18:19], s[14:15], 2
	;; [unrolled: 1-line block ×5, first 2 shown]
	s_branch .LBB0_3
.LBB0_2:                                ;   in Loop: Header=BB0_3 Depth=1
	s_add_co_i32 s2, s2, 0x10000
	s_delay_alu instid0(SALU_CYCLE_1)
	s_cmp_lt_u32 s2, s33
	s_cbranch_scc0 .LBB0_7
.LBB0_3:                                ; =>This Inner Loop Header: Depth=1
	s_and_b32 vcc_lo, exec_lo, s0
	s_mov_b32 s1, s20
	s_wait_alu 0xfffe
	s_cbranch_vccnz .LBB0_5
; %bb.4:                                ;   in Loop: Header=BB0_3 Depth=1
	s_mul_u64 s[34:35], s[22:23], s[2:3]
	s_wait_alu 0xfffe
	s_lshl_b64 s[34:35], s[34:35], 2
	s_wait_alu 0xfffe
	s_add_nc_u64 s[34:35], s[20:21], s[34:35]
	s_load_b32 s1, s[34:35], 0x0
.LBB0_5:                                ;   in Loop: Header=BB0_3 Depth=1
	s_wait_kmcnt 0x0
	s_cmp_eq_f32 s1, 0
	s_cbranch_scc1 .LBB0_2
; %bb.6:                                ;   in Loop: Header=BB0_3 Depth=1
	s_mul_u64 s[34:35], s[12:13], s[2:3]
	s_mul_u64 s[36:37], s[28:29], s[2:3]
	s_wait_alu 0xfffe
	s_lshl_b64 s[34:35], s[34:35], 2
	s_lshl_b64 s[36:37], s[36:37], 2
	s_wait_alu 0xfffe
	s_add_nc_u64 s[34:35], s[6:7], s[34:35]
	s_wait_alu 0xfffe
	v_add_co_u32 v22, vcc_lo, s34, v0
	s_wait_alu 0xfffd
	v_add_co_ci_u32_e64 v23, null, s35, v1, vcc_lo
	v_add_co_u32 v24, vcc_lo, v20, s36
	s_wait_alu 0xfffd
	v_add_co_ci_u32_e64 v25, null, s37, v21, vcc_lo
	;; [unrolled: 3-line block ×6, first 2 shown]
	s_clause 0x1
	global_load_b32 v54, v[22:23], off
	global_load_b32 v55, v[26:27], off
	s_clause 0x3
	global_load_b32 v56, v[24:25], off
	global_load_b32 v57, v[28:29], off
	;; [unrolled: 1-line block ×4, first 2 shown]
	v_add_co_u32 v22, vcc_lo, v24, s18
	s_wait_alu 0xfffd
	v_add_co_ci_u32_e64 v23, null, s19, v25, vcc_lo
	v_add_co_u32 v26, vcc_lo, v24, s24
	s_mul_u64 s[34:35], s[4:5], s[2:3]
	s_wait_alu 0xfffd
	v_add_co_ci_u32_e64 v27, null, s25, v25, vcc_lo
	v_add_co_u32 v34, vcc_lo, v24, s26
	s_wait_alu 0xfffe
	s_lshl_b64 s[34:35], s[34:35], 2
	s_wait_alu 0xfffd
	v_add_co_ci_u32_e64 v35, null, s27, v25, vcc_lo
	v_add_co_u32 v36, vcc_lo, v24, s30
	s_wait_alu 0xfffe
	s_add_nc_u64 s[34:35], s[8:9], s[34:35]
	s_wait_alu 0xfffd
	v_add_co_ci_u32_e64 v37, null, s31, v25, vcc_lo
	s_wait_alu 0xfffe
	v_add_co_u32 v38, vcc_lo, s34, v4
	s_wait_alu 0xfffd
	v_add_co_ci_u32_e64 v39, null, s35, v5, vcc_lo
	v_add_co_u32 v40, vcc_lo, s34, v6
	s_wait_alu 0xfffd
	v_add_co_ci_u32_e64 v41, null, s35, v7, vcc_lo
	;; [unrolled: 3-line block ×8, first 2 shown]
	s_clause 0x3
	global_load_b32 v60, v[22:23], off
	global_load_b32 v61, v[26:27], off
	global_load_b32 v62, v[34:35], off
	global_load_b32 v63, v[36:37], off
	s_clause 0x7
	global_load_b32 v38, v[38:39], off
	global_load_b32 v39, v[40:41], off
	;; [unrolled: 1-line block ×8, first 2 shown]
	s_clause 0x7
	global_load_b32 v46, v[32:33], off offset:256
	global_load_b32 v47, v[30:31], off offset:256
	;; [unrolled: 1-line block ×8, first 2 shown]
	s_wait_loadcnt 0x18
	v_dual_mul_f32 v54, s1, v54 :: v_dual_mul_f32 v55, s1, v55
	s_wait_loadcnt 0xf
	s_delay_alu instid0(VALU_DEP_1)
	v_fmac_f32_e32 v56, v54, v38
	s_wait_loadcnt 0xe
	v_fmac_f32_e32 v57, v54, v39
	s_wait_loadcnt 0xd
	;; [unrolled: 2-line block ×6, first 2 shown]
	v_fmac_f32_e32 v48, v55, v39
	v_fmac_f32_e32 v60, v54, v42
	s_wait_loadcnt 0x3
	v_dual_fmac_f32 v61, v54, v43 :: v_dual_fmac_f32 v50, v55, v45
	s_wait_loadcnt 0x0
	v_dual_fmac_f32 v62, v54, v44 :: v_dual_fmac_f32 v53, v55, v42
	v_dual_fmac_f32 v63, v54, v45 :: v_dual_fmac_f32 v52, v55, v43
	v_fmac_f32_e32 v49, v55, v38
	v_fmac_f32_e32 v51, v55, v44
	s_clause 0xf
	global_store_b32 v[24:25], v56, off
	global_store_b32 v[28:29], v57, off
	global_store_b32 v[30:31], v58, off
	global_store_b32 v[32:33], v59, off
	global_store_b32 v[22:23], v60, off
	global_store_b32 v[26:27], v61, off
	global_store_b32 v[34:35], v62, off
	global_store_b32 v[36:37], v63, off
	global_store_b32 v[24:25], v49, off offset:256
	global_store_b32 v[28:29], v48, off offset:256
	;; [unrolled: 1-line block ×8, first 2 shown]
	s_branch .LBB0_2
.LBB0_7:
	s_endpgm
	.section	.rodata,"a",@progbits
	.p2align	6, 0x0
	.amdhsa_kernel _ZL34rocblas_ger_double_buffered_kernelILb0ELi128ELi8ELi8Ef24rocblas_internal_val_ptrIfEPKfPfEvbiiT4_lT5_lllS6_lllT6_lmli
		.amdhsa_group_segment_fixed_size 0
		.amdhsa_private_segment_fixed_size 0
		.amdhsa_kernarg_size 132
		.amdhsa_user_sgpr_count 2
		.amdhsa_user_sgpr_dispatch_ptr 0
		.amdhsa_user_sgpr_queue_ptr 0
		.amdhsa_user_sgpr_kernarg_segment_ptr 1
		.amdhsa_user_sgpr_dispatch_id 0
		.amdhsa_user_sgpr_private_segment_size 0
		.amdhsa_wavefront_size32 1
		.amdhsa_uses_dynamic_stack 0
		.amdhsa_enable_private_segment 0
		.amdhsa_system_sgpr_workgroup_id_x 1
		.amdhsa_system_sgpr_workgroup_id_y 1
		.amdhsa_system_sgpr_workgroup_id_z 1
		.amdhsa_system_sgpr_workgroup_info 0
		.amdhsa_system_vgpr_workitem_id 1
		.amdhsa_next_free_vgpr 64
		.amdhsa_next_free_sgpr 38
		.amdhsa_reserve_vcc 1
		.amdhsa_float_round_mode_32 0
		.amdhsa_float_round_mode_16_64 0
		.amdhsa_float_denorm_mode_32 3
		.amdhsa_float_denorm_mode_16_64 3
		.amdhsa_fp16_overflow 0
		.amdhsa_workgroup_processor_mode 1
		.amdhsa_memory_ordered 1
		.amdhsa_forward_progress 1
		.amdhsa_inst_pref_size 15
		.amdhsa_round_robin_scheduling 0
		.amdhsa_exception_fp_ieee_invalid_op 0
		.amdhsa_exception_fp_denorm_src 0
		.amdhsa_exception_fp_ieee_div_zero 0
		.amdhsa_exception_fp_ieee_overflow 0
		.amdhsa_exception_fp_ieee_underflow 0
		.amdhsa_exception_fp_ieee_inexact 0
		.amdhsa_exception_int_div_zero 0
	.end_amdhsa_kernel
	.section	.text._ZL34rocblas_ger_double_buffered_kernelILb0ELi128ELi8ELi8Ef24rocblas_internal_val_ptrIfEPKfPfEvbiiT4_lT5_lllS6_lllT6_lmli,"axG",@progbits,_ZL34rocblas_ger_double_buffered_kernelILb0ELi128ELi8ELi8Ef24rocblas_internal_val_ptrIfEPKfPfEvbiiT4_lT5_lllS6_lllT6_lmli,comdat
.Lfunc_end0:
	.size	_ZL34rocblas_ger_double_buffered_kernelILb0ELi128ELi8ELi8Ef24rocblas_internal_val_ptrIfEPKfPfEvbiiT4_lT5_lllS6_lllT6_lmli, .Lfunc_end0-_ZL34rocblas_ger_double_buffered_kernelILb0ELi128ELi8ELi8Ef24rocblas_internal_val_ptrIfEPKfPfEvbiiT4_lT5_lllS6_lllT6_lmli
                                        ; -- End function
	.set _ZL34rocblas_ger_double_buffered_kernelILb0ELi128ELi8ELi8Ef24rocblas_internal_val_ptrIfEPKfPfEvbiiT4_lT5_lllS6_lllT6_lmli.num_vgpr, 64
	.set _ZL34rocblas_ger_double_buffered_kernelILb0ELi128ELi8ELi8Ef24rocblas_internal_val_ptrIfEPKfPfEvbiiT4_lT5_lllS6_lllT6_lmli.num_agpr, 0
	.set _ZL34rocblas_ger_double_buffered_kernelILb0ELi128ELi8ELi8Ef24rocblas_internal_val_ptrIfEPKfPfEvbiiT4_lT5_lllS6_lllT6_lmli.numbered_sgpr, 38
	.set _ZL34rocblas_ger_double_buffered_kernelILb0ELi128ELi8ELi8Ef24rocblas_internal_val_ptrIfEPKfPfEvbiiT4_lT5_lllS6_lllT6_lmli.num_named_barrier, 0
	.set _ZL34rocblas_ger_double_buffered_kernelILb0ELi128ELi8ELi8Ef24rocblas_internal_val_ptrIfEPKfPfEvbiiT4_lT5_lllS6_lllT6_lmli.private_seg_size, 0
	.set _ZL34rocblas_ger_double_buffered_kernelILb0ELi128ELi8ELi8Ef24rocblas_internal_val_ptrIfEPKfPfEvbiiT4_lT5_lllS6_lllT6_lmli.uses_vcc, 1
	.set _ZL34rocblas_ger_double_buffered_kernelILb0ELi128ELi8ELi8Ef24rocblas_internal_val_ptrIfEPKfPfEvbiiT4_lT5_lllS6_lllT6_lmli.uses_flat_scratch, 0
	.set _ZL34rocblas_ger_double_buffered_kernelILb0ELi128ELi8ELi8Ef24rocblas_internal_val_ptrIfEPKfPfEvbiiT4_lT5_lllS6_lllT6_lmli.has_dyn_sized_stack, 0
	.set _ZL34rocblas_ger_double_buffered_kernelILb0ELi128ELi8ELi8Ef24rocblas_internal_val_ptrIfEPKfPfEvbiiT4_lT5_lllS6_lllT6_lmli.has_recursion, 0
	.set _ZL34rocblas_ger_double_buffered_kernelILb0ELi128ELi8ELi8Ef24rocblas_internal_val_ptrIfEPKfPfEvbiiT4_lT5_lllS6_lllT6_lmli.has_indirect_call, 0
	.section	.AMDGPU.csdata,"",@progbits
; Kernel info:
; codeLenInByte = 1832
; TotalNumSgprs: 40
; NumVgprs: 64
; ScratchSize: 0
; MemoryBound: 0
; FloatMode: 240
; IeeeMode: 1
; LDSByteSize: 0 bytes/workgroup (compile time only)
; SGPRBlocks: 0
; VGPRBlocks: 7
; NumSGPRsForWavesPerEU: 40
; NumVGPRsForWavesPerEU: 64
; Occupancy: 16
; WaveLimiterHint : 0
; COMPUTE_PGM_RSRC2:SCRATCH_EN: 0
; COMPUTE_PGM_RSRC2:USER_SGPR: 2
; COMPUTE_PGM_RSRC2:TRAP_HANDLER: 0
; COMPUTE_PGM_RSRC2:TGID_X_EN: 1
; COMPUTE_PGM_RSRC2:TGID_Y_EN: 1
; COMPUTE_PGM_RSRC2:TGID_Z_EN: 1
; COMPUTE_PGM_RSRC2:TIDIG_COMP_CNT: 1
	.section	.text._ZL26rocblas_sger_gfx942_kernelILi256EfPKfS1_PfEviiT1_lT2_lllS4_lllT3_lll,"axG",@progbits,_ZL26rocblas_sger_gfx942_kernelILi256EfPKfS1_PfEviiT1_lT2_lllS4_lllT3_lll,comdat
	.globl	_ZL26rocblas_sger_gfx942_kernelILi256EfPKfS1_PfEviiT1_lT2_lllS4_lllT3_lll ; -- Begin function _ZL26rocblas_sger_gfx942_kernelILi256EfPKfS1_PfEviiT1_lT2_lllS4_lllT3_lll
	.p2align	8
	.type	_ZL26rocblas_sger_gfx942_kernelILi256EfPKfS1_PfEviiT1_lT2_lllS4_lllT3_lll,@function
_ZL26rocblas_sger_gfx942_kernelILi256EfPKfS1_PfEviiT1_lT2_lllS4_lllT3_lll: ; @_ZL26rocblas_sger_gfx942_kernelILi256EfPKfS1_PfEviiT1_lT2_lllS4_lllT3_lll
; %bb.0:
	s_endpgm
	.section	.rodata,"a",@progbits
	.p2align	6, 0x0
	.amdhsa_kernel _ZL26rocblas_sger_gfx942_kernelILi256EfPKfS1_PfEviiT1_lT2_lllS4_lllT3_lll
		.amdhsa_group_segment_fixed_size 0
		.amdhsa_private_segment_fixed_size 0
		.amdhsa_kernarg_size 120
		.amdhsa_user_sgpr_count 2
		.amdhsa_user_sgpr_dispatch_ptr 0
		.amdhsa_user_sgpr_queue_ptr 0
		.amdhsa_user_sgpr_kernarg_segment_ptr 1
		.amdhsa_user_sgpr_dispatch_id 0
		.amdhsa_user_sgpr_private_segment_size 0
		.amdhsa_wavefront_size32 1
		.amdhsa_uses_dynamic_stack 0
		.amdhsa_enable_private_segment 0
		.amdhsa_system_sgpr_workgroup_id_x 1
		.amdhsa_system_sgpr_workgroup_id_y 0
		.amdhsa_system_sgpr_workgroup_id_z 0
		.amdhsa_system_sgpr_workgroup_info 0
		.amdhsa_system_vgpr_workitem_id 0
		.amdhsa_next_free_vgpr 1
		.amdhsa_next_free_sgpr 1
		.amdhsa_reserve_vcc 0
		.amdhsa_float_round_mode_32 0
		.amdhsa_float_round_mode_16_64 0
		.amdhsa_float_denorm_mode_32 3
		.amdhsa_float_denorm_mode_16_64 3
		.amdhsa_fp16_overflow 0
		.amdhsa_workgroup_processor_mode 1
		.amdhsa_memory_ordered 1
		.amdhsa_forward_progress 1
		.amdhsa_inst_pref_size 1
		.amdhsa_round_robin_scheduling 0
		.amdhsa_exception_fp_ieee_invalid_op 0
		.amdhsa_exception_fp_denorm_src 0
		.amdhsa_exception_fp_ieee_div_zero 0
		.amdhsa_exception_fp_ieee_overflow 0
		.amdhsa_exception_fp_ieee_underflow 0
		.amdhsa_exception_fp_ieee_inexact 0
		.amdhsa_exception_int_div_zero 0
	.end_amdhsa_kernel
	.section	.text._ZL26rocblas_sger_gfx942_kernelILi256EfPKfS1_PfEviiT1_lT2_lllS4_lllT3_lll,"axG",@progbits,_ZL26rocblas_sger_gfx942_kernelILi256EfPKfS1_PfEviiT1_lT2_lllS4_lllT3_lll,comdat
.Lfunc_end1:
	.size	_ZL26rocblas_sger_gfx942_kernelILi256EfPKfS1_PfEviiT1_lT2_lllS4_lllT3_lll, .Lfunc_end1-_ZL26rocblas_sger_gfx942_kernelILi256EfPKfS1_PfEviiT1_lT2_lllS4_lllT3_lll
                                        ; -- End function
	.set _ZL26rocblas_sger_gfx942_kernelILi256EfPKfS1_PfEviiT1_lT2_lllS4_lllT3_lll.num_vgpr, 0
	.set _ZL26rocblas_sger_gfx942_kernelILi256EfPKfS1_PfEviiT1_lT2_lllS4_lllT3_lll.num_agpr, 0
	.set _ZL26rocblas_sger_gfx942_kernelILi256EfPKfS1_PfEviiT1_lT2_lllS4_lllT3_lll.numbered_sgpr, 0
	.set _ZL26rocblas_sger_gfx942_kernelILi256EfPKfS1_PfEviiT1_lT2_lllS4_lllT3_lll.num_named_barrier, 0
	.set _ZL26rocblas_sger_gfx942_kernelILi256EfPKfS1_PfEviiT1_lT2_lllS4_lllT3_lll.private_seg_size, 0
	.set _ZL26rocblas_sger_gfx942_kernelILi256EfPKfS1_PfEviiT1_lT2_lllS4_lllT3_lll.uses_vcc, 0
	.set _ZL26rocblas_sger_gfx942_kernelILi256EfPKfS1_PfEviiT1_lT2_lllS4_lllT3_lll.uses_flat_scratch, 0
	.set _ZL26rocblas_sger_gfx942_kernelILi256EfPKfS1_PfEviiT1_lT2_lllS4_lllT3_lll.has_dyn_sized_stack, 0
	.set _ZL26rocblas_sger_gfx942_kernelILi256EfPKfS1_PfEviiT1_lT2_lllS4_lllT3_lll.has_recursion, 0
	.set _ZL26rocblas_sger_gfx942_kernelILi256EfPKfS1_PfEviiT1_lT2_lllS4_lllT3_lll.has_indirect_call, 0
	.section	.AMDGPU.csdata,"",@progbits
; Kernel info:
; codeLenInByte = 4
; TotalNumSgprs: 0
; NumVgprs: 0
; ScratchSize: 0
; MemoryBound: 0
; FloatMode: 240
; IeeeMode: 1
; LDSByteSize: 0 bytes/workgroup (compile time only)
; SGPRBlocks: 0
; VGPRBlocks: 0
; NumSGPRsForWavesPerEU: 1
; NumVGPRsForWavesPerEU: 1
; Occupancy: 16
; WaveLimiterHint : 0
; COMPUTE_PGM_RSRC2:SCRATCH_EN: 0
; COMPUTE_PGM_RSRC2:USER_SGPR: 2
; COMPUTE_PGM_RSRC2:TRAP_HANDLER: 0
; COMPUTE_PGM_RSRC2:TGID_X_EN: 1
; COMPUTE_PGM_RSRC2:TGID_Y_EN: 0
; COMPUTE_PGM_RSRC2:TGID_Z_EN: 0
; COMPUTE_PGM_RSRC2:TIDIG_COMP_CNT: 0
	.section	.text._ZL26rocblas_sger_gfx942_kernelILi256EffPKfPfEviiT1_lT2_lllS4_lllT3_lll,"axG",@progbits,_ZL26rocblas_sger_gfx942_kernelILi256EffPKfPfEviiT1_lT2_lllS4_lllT3_lll,comdat
	.globl	_ZL26rocblas_sger_gfx942_kernelILi256EffPKfPfEviiT1_lT2_lllS4_lllT3_lll ; -- Begin function _ZL26rocblas_sger_gfx942_kernelILi256EffPKfPfEviiT1_lT2_lllS4_lllT3_lll
	.p2align	8
	.type	_ZL26rocblas_sger_gfx942_kernelILi256EffPKfPfEviiT1_lT2_lllS4_lllT3_lll,@function
_ZL26rocblas_sger_gfx942_kernelILi256EffPKfPfEviiT1_lT2_lllS4_lllT3_lll: ; @_ZL26rocblas_sger_gfx942_kernelILi256EffPKfPfEviiT1_lT2_lllS4_lllT3_lll
; %bb.0:
	s_endpgm
	.section	.rodata,"a",@progbits
	.p2align	6, 0x0
	.amdhsa_kernel _ZL26rocblas_sger_gfx942_kernelILi256EffPKfPfEviiT1_lT2_lllS4_lllT3_lll
		.amdhsa_group_segment_fixed_size 0
		.amdhsa_private_segment_fixed_size 0
		.amdhsa_kernarg_size 120
		.amdhsa_user_sgpr_count 2
		.amdhsa_user_sgpr_dispatch_ptr 0
		.amdhsa_user_sgpr_queue_ptr 0
		.amdhsa_user_sgpr_kernarg_segment_ptr 1
		.amdhsa_user_sgpr_dispatch_id 0
		.amdhsa_user_sgpr_private_segment_size 0
		.amdhsa_wavefront_size32 1
		.amdhsa_uses_dynamic_stack 0
		.amdhsa_enable_private_segment 0
		.amdhsa_system_sgpr_workgroup_id_x 1
		.amdhsa_system_sgpr_workgroup_id_y 0
		.amdhsa_system_sgpr_workgroup_id_z 0
		.amdhsa_system_sgpr_workgroup_info 0
		.amdhsa_system_vgpr_workitem_id 0
		.amdhsa_next_free_vgpr 1
		.amdhsa_next_free_sgpr 1
		.amdhsa_reserve_vcc 0
		.amdhsa_float_round_mode_32 0
		.amdhsa_float_round_mode_16_64 0
		.amdhsa_float_denorm_mode_32 3
		.amdhsa_float_denorm_mode_16_64 3
		.amdhsa_fp16_overflow 0
		.amdhsa_workgroup_processor_mode 1
		.amdhsa_memory_ordered 1
		.amdhsa_forward_progress 1
		.amdhsa_inst_pref_size 1
		.amdhsa_round_robin_scheduling 0
		.amdhsa_exception_fp_ieee_invalid_op 0
		.amdhsa_exception_fp_denorm_src 0
		.amdhsa_exception_fp_ieee_div_zero 0
		.amdhsa_exception_fp_ieee_overflow 0
		.amdhsa_exception_fp_ieee_underflow 0
		.amdhsa_exception_fp_ieee_inexact 0
		.amdhsa_exception_int_div_zero 0
	.end_amdhsa_kernel
	.section	.text._ZL26rocblas_sger_gfx942_kernelILi256EffPKfPfEviiT1_lT2_lllS4_lllT3_lll,"axG",@progbits,_ZL26rocblas_sger_gfx942_kernelILi256EffPKfPfEviiT1_lT2_lllS4_lllT3_lll,comdat
.Lfunc_end2:
	.size	_ZL26rocblas_sger_gfx942_kernelILi256EffPKfPfEviiT1_lT2_lllS4_lllT3_lll, .Lfunc_end2-_ZL26rocblas_sger_gfx942_kernelILi256EffPKfPfEviiT1_lT2_lllS4_lllT3_lll
                                        ; -- End function
	.set _ZL26rocblas_sger_gfx942_kernelILi256EffPKfPfEviiT1_lT2_lllS4_lllT3_lll.num_vgpr, 0
	.set _ZL26rocblas_sger_gfx942_kernelILi256EffPKfPfEviiT1_lT2_lllS4_lllT3_lll.num_agpr, 0
	.set _ZL26rocblas_sger_gfx942_kernelILi256EffPKfPfEviiT1_lT2_lllS4_lllT3_lll.numbered_sgpr, 0
	.set _ZL26rocblas_sger_gfx942_kernelILi256EffPKfPfEviiT1_lT2_lllS4_lllT3_lll.num_named_barrier, 0
	.set _ZL26rocblas_sger_gfx942_kernelILi256EffPKfPfEviiT1_lT2_lllS4_lllT3_lll.private_seg_size, 0
	.set _ZL26rocblas_sger_gfx942_kernelILi256EffPKfPfEviiT1_lT2_lllS4_lllT3_lll.uses_vcc, 0
	.set _ZL26rocblas_sger_gfx942_kernelILi256EffPKfPfEviiT1_lT2_lllS4_lllT3_lll.uses_flat_scratch, 0
	.set _ZL26rocblas_sger_gfx942_kernelILi256EffPKfPfEviiT1_lT2_lllS4_lllT3_lll.has_dyn_sized_stack, 0
	.set _ZL26rocblas_sger_gfx942_kernelILi256EffPKfPfEviiT1_lT2_lllS4_lllT3_lll.has_recursion, 0
	.set _ZL26rocblas_sger_gfx942_kernelILi256EffPKfPfEviiT1_lT2_lllS4_lllT3_lll.has_indirect_call, 0
	.section	.AMDGPU.csdata,"",@progbits
; Kernel info:
; codeLenInByte = 4
; TotalNumSgprs: 0
; NumVgprs: 0
; ScratchSize: 0
; MemoryBound: 0
; FloatMode: 240
; IeeeMode: 1
; LDSByteSize: 0 bytes/workgroup (compile time only)
; SGPRBlocks: 0
; VGPRBlocks: 0
; NumSGPRsForWavesPerEU: 1
; NumVGPRsForWavesPerEU: 1
; Occupancy: 16
; WaveLimiterHint : 0
; COMPUTE_PGM_RSRC2:SCRATCH_EN: 0
; COMPUTE_PGM_RSRC2:USER_SGPR: 2
; COMPUTE_PGM_RSRC2:TRAP_HANDLER: 0
; COMPUTE_PGM_RSRC2:TGID_X_EN: 1
; COMPUTE_PGM_RSRC2:TGID_Y_EN: 0
; COMPUTE_PGM_RSRC2:TGID_Z_EN: 0
; COMPUTE_PGM_RSRC2:TIDIG_COMP_CNT: 0
	.section	.text._ZL19rocblas_sger_kernelILi1024EfPKfS1_PfEviiT1_lT2_lllS4_lllT3_lmli,"axG",@progbits,_ZL19rocblas_sger_kernelILi1024EfPKfS1_PfEviiT1_lT2_lllS4_lllT3_lmli,comdat
	.globl	_ZL19rocblas_sger_kernelILi1024EfPKfS1_PfEviiT1_lT2_lllS4_lllT3_lmli ; -- Begin function _ZL19rocblas_sger_kernelILi1024EfPKfS1_PfEviiT1_lT2_lllS4_lllT3_lmli
	.p2align	8
	.type	_ZL19rocblas_sger_kernelILi1024EfPKfS1_PfEviiT1_lT2_lllS4_lllT3_lmli,@function
_ZL19rocblas_sger_kernelILi1024EfPKfS1_PfEviiT1_lT2_lllS4_lllT3_lmli: ; @_ZL19rocblas_sger_kernelILi1024EfPKfS1_PfEviiT1_lT2_lllS4_lllT3_lmli
; %bb.0:
	s_load_b32 s28, s[0:1], 0x78
	s_lshr_b32 s2, ttmp7, 16
	s_wait_kmcnt 0x0
	s_cmp_ge_u32 s2, s28
	s_cbranch_scc1 .LBB3_8
; %bb.1:
	s_clause 0x6
	s_load_b128 s[24:27], s[0:1], 0x20
	s_load_b256 s[12:19], s[0:1], 0x30
	s_load_b32 s29, s[0:1], 0x0
	s_load_b256 s[4:11], s[0:1], 0x50
	s_load_b64 s[34:35], s[0:1], 0x18
	s_load_b128 s[20:23], s[0:1], 0x8
	s_load_b64 s[36:37], s[0:1], 0x70
	s_mov_b32 s30, ttmp9
	s_ashr_i32 s31, ttmp9, 31
	s_mov_b32 s3, 0
	s_wait_kmcnt 0x0
	v_mad_co_u64_u32 v[1:2], null, s26, v0, 0
	v_cmp_gt_i32_e32 vcc_lo, s29, v0
	s_lshl_b64 s[0:1], s[16:17], 2
	s_mul_u64 s[16:17], s[18:19], s[30:31]
	s_mul_u64 s[10:11], s[10:11], s[30:31]
	s_lshl_b64 s[18:19], s[24:25], 2
	s_lshl_b64 s[24:25], s[8:9], 2
	s_delay_alu instid0(VALU_DEP_2)
	v_mad_co_u64_u32 v[2:3], null, s27, v0, v[2:3]
	v_cndmask_b32_e32 v3, 0, v0, vcc_lo
	s_add_nc_u64 s[0:1], s[14:15], s[0:1]
	s_lshl_b64 s[8:9], s[16:17], 2
	s_lshl_b64 s[10:11], s[10:11], 2
	s_add_nc_u64 s[14:15], s[34:35], s[18:19]
	v_lshlrev_b32_e32 v3, 2, v3
	s_delay_alu instid0(VALU_DEP_3) | instskip(SKIP_4) | instid1(VALU_DEP_1)
	v_lshlrev_b64_e32 v[1:2], 2, v[1:2]
	s_add_nc_u64 s[8:9], s[0:1], s[8:9]
	s_add_nc_u64 s[0:1], s[10:11], s[24:25]
	s_lshl_b64 s[10:11], s[26:27], 12
	s_add_nc_u64 s[6:7], s[6:7], s[0:1]
	v_add_co_u32 v1, s0, s14, v1
	s_delay_alu instid0(VALU_DEP_1)
	v_add_co_ci_u32_e64 v2, null, s15, v2, s0
	v_add_co_u32 v3, s0, s6, v3
	s_wait_alu 0xf1ff
	v_add_co_ci_u32_e64 v4, null, s7, 0, s0
	s_lshl_b64 s[6:7], s[12:13], 2
	s_lshl_b64 s[12:13], s[36:37], 2
	s_branch .LBB3_4
.LBB3_2:                                ;   in Loop: Header=BB3_4 Depth=1
	s_wait_alu 0xfffe
	s_or_b32 exec_lo, exec_lo, s14
.LBB3_3:                                ;   in Loop: Header=BB3_4 Depth=1
	s_add_co_i32 s2, s2, 0x10000
	s_wait_alu 0xfffe
	s_cmp_lt_u32 s2, s28
	s_cbranch_scc0 .LBB3_8
.LBB3_4:                                ; =>This Loop Header: Depth=1
                                        ;     Child Loop BB3_7 Depth 2
	s_mul_u64 s[0:1], s[22:23], s[2:3]
	s_wait_alu 0xfffe
	s_lshl_b64 s[0:1], s[0:1], 2
	s_wait_alu 0xfffe
	s_add_nc_u64 s[0:1], s[20:21], s[0:1]
	s_load_b32 s0, s[0:1], 0x0
	s_wait_kmcnt 0x0
	s_cmp_eq_f32 s0, 0
	s_cbranch_scc1 .LBB3_3
; %bb.5:                                ;   in Loop: Header=BB3_4 Depth=1
	s_and_saveexec_b32 s14, vcc_lo
	s_cbranch_execz .LBB3_2
; %bb.6:                                ;   in Loop: Header=BB3_4 Depth=1
	s_mul_u64 s[16:17], s[4:5], s[2:3]
	v_mad_co_u64_u32 v[5:6], null, s6, s2, v[1:2]
	v_mad_co_u64_u32 v[7:8], null, s12, s2, v[3:4]
	s_lshl_b64 s[16:17], s[16:17], 2
	s_delay_alu instid0(SALU_CYCLE_1) | instskip(SKIP_3) | instid1(VALU_DEP_1)
	s_add_nc_u64 s[16:17], s[8:9], s[16:17]
	s_load_b32 s1, s[16:17], 0x0
	s_mov_b32 s16, 0
	v_mad_co_u64_u32 v[9:10], null, s7, s2, v[6:7]
	v_mad_co_u64_u32 v[10:11], null, s13, s2, v[8:9]
	v_dual_mov_b32 v6, v9 :: v_dual_mov_b32 v9, v0
	s_delay_alu instid0(VALU_DEP_2)
	v_mov_b32_e32 v8, v10
	s_wait_kmcnt 0x0
	s_mul_f32 s15, s0, s1
.LBB3_7:                                ;   Parent Loop BB3_4 Depth=1
                                        ; =>  This Inner Loop Header: Depth=2
	global_load_b32 v10, v[5:6], off
	global_load_b32 v11, v[7:8], off
	v_add_nc_u32_e32 v9, 0x400, v9
	v_add_co_u32 v5, s0, v5, s10
	s_wait_alu 0xf1ff
	v_add_co_ci_u32_e64 v6, null, s11, v6, s0
	s_delay_alu instid0(VALU_DEP_3)
	v_cmp_le_i32_e64 s0, s29, v9
	s_or_b32 s16, s0, s16
	s_wait_loadcnt 0x0
	s_wait_alu 0xfffe
	v_fmac_f32_e32 v11, s15, v10
	global_store_b32 v[7:8], v11, off
	v_add_co_u32 v7, s1, 0x1000, v7
	s_wait_alu 0xf1ff
	v_add_co_ci_u32_e64 v8, null, 0, v8, s1
	s_and_not1_b32 exec_lo, exec_lo, s16
	s_cbranch_execnz .LBB3_7
	s_branch .LBB3_2
.LBB3_8:
	s_endpgm
	.section	.rodata,"a",@progbits
	.p2align	6, 0x0
	.amdhsa_kernel _ZL19rocblas_sger_kernelILi1024EfPKfS1_PfEviiT1_lT2_lllS4_lllT3_lmli
		.amdhsa_group_segment_fixed_size 0
		.amdhsa_private_segment_fixed_size 0
		.amdhsa_kernarg_size 124
		.amdhsa_user_sgpr_count 2
		.amdhsa_user_sgpr_dispatch_ptr 0
		.amdhsa_user_sgpr_queue_ptr 0
		.amdhsa_user_sgpr_kernarg_segment_ptr 1
		.amdhsa_user_sgpr_dispatch_id 0
		.amdhsa_user_sgpr_private_segment_size 0
		.amdhsa_wavefront_size32 1
		.amdhsa_uses_dynamic_stack 0
		.amdhsa_enable_private_segment 0
		.amdhsa_system_sgpr_workgroup_id_x 1
		.amdhsa_system_sgpr_workgroup_id_y 0
		.amdhsa_system_sgpr_workgroup_id_z 1
		.amdhsa_system_sgpr_workgroup_info 0
		.amdhsa_system_vgpr_workitem_id 0
		.amdhsa_next_free_vgpr 12
		.amdhsa_next_free_sgpr 38
		.amdhsa_reserve_vcc 1
		.amdhsa_float_round_mode_32 0
		.amdhsa_float_round_mode_16_64 0
		.amdhsa_float_denorm_mode_32 3
		.amdhsa_float_denorm_mode_16_64 3
		.amdhsa_fp16_overflow 0
		.amdhsa_workgroup_processor_mode 1
		.amdhsa_memory_ordered 1
		.amdhsa_forward_progress 1
		.amdhsa_inst_pref_size 5
		.amdhsa_round_robin_scheduling 0
		.amdhsa_exception_fp_ieee_invalid_op 0
		.amdhsa_exception_fp_denorm_src 0
		.amdhsa_exception_fp_ieee_div_zero 0
		.amdhsa_exception_fp_ieee_overflow 0
		.amdhsa_exception_fp_ieee_underflow 0
		.amdhsa_exception_fp_ieee_inexact 0
		.amdhsa_exception_int_div_zero 0
	.end_amdhsa_kernel
	.section	.text._ZL19rocblas_sger_kernelILi1024EfPKfS1_PfEviiT1_lT2_lllS4_lllT3_lmli,"axG",@progbits,_ZL19rocblas_sger_kernelILi1024EfPKfS1_PfEviiT1_lT2_lllS4_lllT3_lmli,comdat
.Lfunc_end3:
	.size	_ZL19rocblas_sger_kernelILi1024EfPKfS1_PfEviiT1_lT2_lllS4_lllT3_lmli, .Lfunc_end3-_ZL19rocblas_sger_kernelILi1024EfPKfS1_PfEviiT1_lT2_lllS4_lllT3_lmli
                                        ; -- End function
	.set _ZL19rocblas_sger_kernelILi1024EfPKfS1_PfEviiT1_lT2_lllS4_lllT3_lmli.num_vgpr, 12
	.set _ZL19rocblas_sger_kernelILi1024EfPKfS1_PfEviiT1_lT2_lllS4_lllT3_lmli.num_agpr, 0
	.set _ZL19rocblas_sger_kernelILi1024EfPKfS1_PfEviiT1_lT2_lllS4_lllT3_lmli.numbered_sgpr, 38
	.set _ZL19rocblas_sger_kernelILi1024EfPKfS1_PfEviiT1_lT2_lllS4_lllT3_lmli.num_named_barrier, 0
	.set _ZL19rocblas_sger_kernelILi1024EfPKfS1_PfEviiT1_lT2_lllS4_lllT3_lmli.private_seg_size, 0
	.set _ZL19rocblas_sger_kernelILi1024EfPKfS1_PfEviiT1_lT2_lllS4_lllT3_lmli.uses_vcc, 1
	.set _ZL19rocblas_sger_kernelILi1024EfPKfS1_PfEviiT1_lT2_lllS4_lllT3_lmli.uses_flat_scratch, 0
	.set _ZL19rocblas_sger_kernelILi1024EfPKfS1_PfEviiT1_lT2_lllS4_lllT3_lmli.has_dyn_sized_stack, 0
	.set _ZL19rocblas_sger_kernelILi1024EfPKfS1_PfEviiT1_lT2_lllS4_lllT3_lmli.has_recursion, 0
	.set _ZL19rocblas_sger_kernelILi1024EfPKfS1_PfEviiT1_lT2_lllS4_lllT3_lmli.has_indirect_call, 0
	.section	.AMDGPU.csdata,"",@progbits
; Kernel info:
; codeLenInByte = 536
; TotalNumSgprs: 40
; NumVgprs: 12
; ScratchSize: 0
; MemoryBound: 0
; FloatMode: 240
; IeeeMode: 1
; LDSByteSize: 0 bytes/workgroup (compile time only)
; SGPRBlocks: 0
; VGPRBlocks: 1
; NumSGPRsForWavesPerEU: 40
; NumVGPRsForWavesPerEU: 12
; Occupancy: 16
; WaveLimiterHint : 0
; COMPUTE_PGM_RSRC2:SCRATCH_EN: 0
; COMPUTE_PGM_RSRC2:USER_SGPR: 2
; COMPUTE_PGM_RSRC2:TRAP_HANDLER: 0
; COMPUTE_PGM_RSRC2:TGID_X_EN: 1
; COMPUTE_PGM_RSRC2:TGID_Y_EN: 0
; COMPUTE_PGM_RSRC2:TGID_Z_EN: 1
; COMPUTE_PGM_RSRC2:TIDIG_COMP_CNT: 0
	.section	.text._ZL19rocblas_sger_kernelILi1024EffPKfPfEviiT1_lT2_lllS4_lllT3_lmli,"axG",@progbits,_ZL19rocblas_sger_kernelILi1024EffPKfPfEviiT1_lT2_lllS4_lllT3_lmli,comdat
	.globl	_ZL19rocblas_sger_kernelILi1024EffPKfPfEviiT1_lT2_lllS4_lllT3_lmli ; -- Begin function _ZL19rocblas_sger_kernelILi1024EffPKfPfEviiT1_lT2_lllS4_lllT3_lmli
	.p2align	8
	.type	_ZL19rocblas_sger_kernelILi1024EffPKfPfEviiT1_lT2_lllS4_lllT3_lmli,@function
_ZL19rocblas_sger_kernelILi1024EffPKfPfEviiT1_lT2_lllS4_lllT3_lmli: ; @_ZL19rocblas_sger_kernelILi1024EffPKfPfEviiT1_lT2_lllS4_lllT3_lmli
; %bb.0:
	s_load_b32 s24, s[0:1], 0x78
	s_lshr_b32 s2, ttmp7, 16
	s_wait_kmcnt 0x0
	s_cmp_ge_u32 s2, s24
	s_cbranch_scc1 .LBB4_8
; %bb.1:
	s_clause 0x6
	s_load_b128 s[20:23], s[0:1], 0x20
	s_load_b256 s[12:19], s[0:1], 0x30
	s_load_b32 s25, s[0:1], 0x8
	s_load_b32 s26, s[0:1], 0x0
	s_load_b256 s[4:11], s[0:1], 0x50
	s_load_b64 s[30:31], s[0:1], 0x18
	s_load_b64 s[34:35], s[0:1], 0x70
	s_mov_b32 s28, ttmp9
	s_mov_b32 s3, 0
	s_wait_kmcnt 0x0
	v_mad_co_u64_u32 v[1:2], null, s22, v0, 0
	s_lshl_b64 s[16:17], s[16:17], 2
	v_cmp_gt_i32_e64 s0, s26, v0
	s_cmp_neq_f32 s25, 0
	s_add_nc_u64 s[16:17], s[14:15], s[16:17]
	s_cselect_b32 s14, -1, 0
	v_mad_co_u64_u32 v[2:3], null, s23, v0, v[2:3]
	v_cndmask_b32_e64 v4, 0, v0, s0
	s_ashr_i32 s29, ttmp9, 31
	s_lshl_b64 s[8:9], s[8:9], 2
	s_mul_u64 s[10:11], s[10:11], s[28:29]
	s_lshl_b64 s[20:21], s[20:21], 2
	v_lshlrev_b32_e32 v5, 2, v4
	s_lshl_b64 s[10:11], s[10:11], 2
	v_lshlrev_b64_e32 v[3:4], 2, v[1:2]
	s_add_nc_u64 s[10:11], s[10:11], s[8:9]
	s_add_nc_u64 s[20:21], s[30:31], s[20:21]
	;; [unrolled: 1-line block ×3, first 2 shown]
	s_mul_u64 s[18:19], s[18:19], s[28:29]
	v_add_co_u32 v1, s1, s6, v5
	v_add_co_u32 v3, vcc_lo, s20, v3
	s_wait_alu 0xf1ff
	v_add_co_ci_u32_e64 v2, null, s7, 0, s1
	v_add_co_ci_u32_e64 v4, null, s21, v4, vcc_lo
	s_lshl_b64 s[18:19], s[18:19], 2
	s_lshl_b64 s[6:7], s[12:13], 2
	s_add_nc_u64 s[8:9], s[16:17], s[18:19]
	s_lshl_b64 s[10:11], s[22:23], 12
	s_lshl_b64 s[12:13], s[34:35], 2
	s_branch .LBB4_4
.LBB4_2:                                ;   in Loop: Header=BB4_4 Depth=1
	s_or_b32 exec_lo, exec_lo, s15
.LBB4_3:                                ;   in Loop: Header=BB4_4 Depth=1
	s_add_co_i32 s2, s2, 0x10000
	s_wait_alu 0xfffe
	s_cmp_lt_u32 s2, s24
	s_cbranch_scc0 .LBB4_8
.LBB4_4:                                ; =>This Loop Header: Depth=1
                                        ;     Child Loop BB4_7 Depth 2
	s_and_not1_b32 vcc_lo, exec_lo, s14
	s_wait_alu 0xfffe
	s_cbranch_vccnz .LBB4_3
; %bb.5:                                ;   in Loop: Header=BB4_4 Depth=1
	s_and_saveexec_b32 s15, s0
	s_cbranch_execz .LBB4_2
; %bb.6:                                ;   in Loop: Header=BB4_4 Depth=1
	s_mul_u64 s[16:17], s[4:5], s[2:3]
	v_mad_co_u64_u32 v[5:6], null, s6, s2, v[3:4]
	v_mad_co_u64_u32 v[7:8], null, s12, s2, v[1:2]
	s_wait_alu 0xfffe
	s_lshl_b64 s[16:17], s[16:17], 2
	s_wait_alu 0xfffe
	s_add_nc_u64 s[16:17], s[8:9], s[16:17]
	s_load_b32 s1, s[16:17], 0x0
	s_mov_b32 s17, 0
	s_delay_alu instid0(VALU_DEP_1) | instskip(NEXT) | instid1(VALU_DEP_1)
	v_mad_co_u64_u32 v[9:10], null, s7, s2, v[6:7]
	v_mad_co_u64_u32 v[10:11], null, s13, s2, v[8:9]
	v_dual_mov_b32 v6, v9 :: v_dual_mov_b32 v9, v0
	s_delay_alu instid0(VALU_DEP_2)
	v_mov_b32_e32 v8, v10
	s_wait_kmcnt 0x0
	s_mul_f32 s16, s25, s1
.LBB4_7:                                ;   Parent Loop BB4_4 Depth=1
                                        ; =>  This Inner Loop Header: Depth=2
	global_load_b32 v10, v[5:6], off
	global_load_b32 v11, v[7:8], off
	v_add_nc_u32_e32 v9, 0x400, v9
	v_add_co_u32 v5, vcc_lo, v5, s10
	s_wait_alu 0xfffd
	v_add_co_ci_u32_e64 v6, null, s11, v6, vcc_lo
	s_delay_alu instid0(VALU_DEP_3)
	v_cmp_le_i32_e32 vcc_lo, s26, v9
	s_wait_alu 0xfffe
	s_or_b32 s17, vcc_lo, s17
	s_wait_loadcnt 0x0
	v_fmac_f32_e32 v11, s16, v10
	global_store_b32 v[7:8], v11, off
	v_add_co_u32 v7, s1, 0x1000, v7
	s_wait_alu 0xf1ff
	v_add_co_ci_u32_e64 v8, null, 0, v8, s1
	s_wait_alu 0xfffe
	s_and_not1_b32 exec_lo, exec_lo, s17
	s_cbranch_execnz .LBB4_7
	s_branch .LBB4_2
.LBB4_8:
	s_endpgm
	.section	.rodata,"a",@progbits
	.p2align	6, 0x0
	.amdhsa_kernel _ZL19rocblas_sger_kernelILi1024EffPKfPfEviiT1_lT2_lllS4_lllT3_lmli
		.amdhsa_group_segment_fixed_size 0
		.amdhsa_private_segment_fixed_size 0
		.amdhsa_kernarg_size 124
		.amdhsa_user_sgpr_count 2
		.amdhsa_user_sgpr_dispatch_ptr 0
		.amdhsa_user_sgpr_queue_ptr 0
		.amdhsa_user_sgpr_kernarg_segment_ptr 1
		.amdhsa_user_sgpr_dispatch_id 0
		.amdhsa_user_sgpr_private_segment_size 0
		.amdhsa_wavefront_size32 1
		.amdhsa_uses_dynamic_stack 0
		.amdhsa_enable_private_segment 0
		.amdhsa_system_sgpr_workgroup_id_x 1
		.amdhsa_system_sgpr_workgroup_id_y 0
		.amdhsa_system_sgpr_workgroup_id_z 1
		.amdhsa_system_sgpr_workgroup_info 0
		.amdhsa_system_vgpr_workitem_id 0
		.amdhsa_next_free_vgpr 12
		.amdhsa_next_free_sgpr 36
		.amdhsa_reserve_vcc 1
		.amdhsa_float_round_mode_32 0
		.amdhsa_float_round_mode_16_64 0
		.amdhsa_float_denorm_mode_32 3
		.amdhsa_float_denorm_mode_16_64 3
		.amdhsa_fp16_overflow 0
		.amdhsa_workgroup_processor_mode 1
		.amdhsa_memory_ordered 1
		.amdhsa_forward_progress 1
		.amdhsa_inst_pref_size 5
		.amdhsa_round_robin_scheduling 0
		.amdhsa_exception_fp_ieee_invalid_op 0
		.amdhsa_exception_fp_denorm_src 0
		.amdhsa_exception_fp_ieee_div_zero 0
		.amdhsa_exception_fp_ieee_overflow 0
		.amdhsa_exception_fp_ieee_underflow 0
		.amdhsa_exception_fp_ieee_inexact 0
		.amdhsa_exception_int_div_zero 0
	.end_amdhsa_kernel
	.section	.text._ZL19rocblas_sger_kernelILi1024EffPKfPfEviiT1_lT2_lllS4_lllT3_lmli,"axG",@progbits,_ZL19rocblas_sger_kernelILi1024EffPKfPfEviiT1_lT2_lllS4_lllT3_lmli,comdat
.Lfunc_end4:
	.size	_ZL19rocblas_sger_kernelILi1024EffPKfPfEviiT1_lT2_lllS4_lllT3_lmli, .Lfunc_end4-_ZL19rocblas_sger_kernelILi1024EffPKfPfEviiT1_lT2_lllS4_lllT3_lmli
                                        ; -- End function
	.set _ZL19rocblas_sger_kernelILi1024EffPKfPfEviiT1_lT2_lllS4_lllT3_lmli.num_vgpr, 12
	.set _ZL19rocblas_sger_kernelILi1024EffPKfPfEviiT1_lT2_lllS4_lllT3_lmli.num_agpr, 0
	.set _ZL19rocblas_sger_kernelILi1024EffPKfPfEviiT1_lT2_lllS4_lllT3_lmli.numbered_sgpr, 36
	.set _ZL19rocblas_sger_kernelILi1024EffPKfPfEviiT1_lT2_lllS4_lllT3_lmli.num_named_barrier, 0
	.set _ZL19rocblas_sger_kernelILi1024EffPKfPfEviiT1_lT2_lllS4_lllT3_lmli.private_seg_size, 0
	.set _ZL19rocblas_sger_kernelILi1024EffPKfPfEviiT1_lT2_lllS4_lllT3_lmli.uses_vcc, 1
	.set _ZL19rocblas_sger_kernelILi1024EffPKfPfEviiT1_lT2_lllS4_lllT3_lmli.uses_flat_scratch, 0
	.set _ZL19rocblas_sger_kernelILi1024EffPKfPfEviiT1_lT2_lllS4_lllT3_lmli.has_dyn_sized_stack, 0
	.set _ZL19rocblas_sger_kernelILi1024EffPKfPfEviiT1_lT2_lllS4_lllT3_lmli.has_recursion, 0
	.set _ZL19rocblas_sger_kernelILi1024EffPKfPfEviiT1_lT2_lllS4_lllT3_lmli.has_indirect_call, 0
	.section	.AMDGPU.csdata,"",@progbits
; Kernel info:
; codeLenInByte = 516
; TotalNumSgprs: 38
; NumVgprs: 12
; ScratchSize: 0
; MemoryBound: 0
; FloatMode: 240
; IeeeMode: 1
; LDSByteSize: 0 bytes/workgroup (compile time only)
; SGPRBlocks: 0
; VGPRBlocks: 1
; NumSGPRsForWavesPerEU: 38
; NumVGPRsForWavesPerEU: 12
; Occupancy: 16
; WaveLimiterHint : 0
; COMPUTE_PGM_RSRC2:SCRATCH_EN: 0
; COMPUTE_PGM_RSRC2:USER_SGPR: 2
; COMPUTE_PGM_RSRC2:TRAP_HANDLER: 0
; COMPUTE_PGM_RSRC2:TGID_X_EN: 1
; COMPUTE_PGM_RSRC2:TGID_Y_EN: 0
; COMPUTE_PGM_RSRC2:TGID_Z_EN: 1
; COMPUTE_PGM_RSRC2:TIDIG_COMP_CNT: 0
	.section	.text._ZL18rocblas_ger_kernelILi32ELi32ELi2ELb0EfPKfS1_PfEviiT4_lT5_lllS4_lllT6_lmli,"axG",@progbits,_ZL18rocblas_ger_kernelILi32ELi32ELi2ELb0EfPKfS1_PfEviiT4_lT5_lllS4_lllT6_lmli,comdat
	.globl	_ZL18rocblas_ger_kernelILi32ELi32ELi2ELb0EfPKfS1_PfEviiT4_lT5_lllS4_lllT6_lmli ; -- Begin function _ZL18rocblas_ger_kernelILi32ELi32ELi2ELb0EfPKfS1_PfEviiT4_lT5_lllS4_lllT6_lmli
	.p2align	8
	.type	_ZL18rocblas_ger_kernelILi32ELi32ELi2ELb0EfPKfS1_PfEviiT4_lT5_lllS4_lllT6_lmli,@function
_ZL18rocblas_ger_kernelILi32ELi32ELi2ELb0EfPKfS1_PfEviiT4_lT5_lllS4_lllT6_lmli: ; @_ZL18rocblas_ger_kernelILi32ELi32ELi2ELb0EfPKfS1_PfEviiT4_lT5_lllS4_lllT6_lmli
; %bb.0:
	s_load_b32 s33, s[0:1], 0x78
	s_lshr_b32 s28, ttmp7, 16
	s_wait_kmcnt 0x0
	s_cmp_ge_u32 s28, s33
	s_cbranch_scc1 .LBB5_18
; %bb.1:
	s_clause 0x3
	s_load_b64 s[34:35], s[0:1], 0x0
	s_load_b128 s[24:27], s[0:1], 0x8
	s_load_b256 s[8:15], s[0:1], 0x50
	s_load_b256 s[16:23], s[0:1], 0x30
	v_and_b32_e32 v2, 0x3ff, v0
	s_wait_kmcnt 0x0
	s_add_co_i32 s2, s34, -1
	s_delay_alu instid0(SALU_CYCLE_1) | instskip(NEXT) | instid1(SALU_CYCLE_1)
	s_ashr_i32 s3, s2, 31
	s_lshr_b32 s3, s3, 27
	s_delay_alu instid0(SALU_CYCLE_1) | instskip(NEXT) | instid1(SALU_CYCLE_1)
	s_add_co_i32 s2, s2, s3
	s_ashr_i32 s29, s2, 5
	s_delay_alu instid0(SALU_CYCLE_1) | instskip(NEXT) | instid1(SALU_CYCLE_1)
	s_add_co_i32 s36, s29, 1
	s_cvt_f32_u32 s2, s36
	s_delay_alu instid0(SALU_CYCLE_3) | instskip(NEXT) | instid1(TRANS32_DEP_1)
	v_rcp_iflag_f32_e32 v1, s2
	v_readfirstlane_b32 s2, v1
	v_bfe_u32 v1, v0, 10, 10
	s_mul_f32 s30, s2, 0x4f7ffffe
	s_clause 0x1
	s_load_b64 s[2:3], s[0:1], 0x18
	s_load_b128 s[4:7], s[0:1], 0x20
	v_lshlrev_b32_e32 v0, 1, v1
	v_lshlrev_b32_e32 v4, 3, v1
	s_cvt_u32_f32 s37, s30
	s_load_b64 s[30:31], s[0:1], 0x70
	s_not_b32 s0, s29
	s_delay_alu instid0(SALU_CYCLE_1) | instskip(NEXT) | instid1(SALU_CYCLE_1)
	s_mul_i32 s0, s0, s37
	s_mul_hi_u32 s1, s37, s0
	v_cmp_eq_u32_e64 s0, 0, v1
	s_add_co_i32 s37, s37, s1
	s_delay_alu instid0(SALU_CYCLE_1) | instskip(NEXT) | instid1(SALU_CYCLE_1)
	s_mul_hi_u32 s29, ttmp9, s37
	s_mul_i32 s37, s29, s36
	s_add_co_i32 s38, s29, 1
	s_sub_co_i32 s37, ttmp9, s37
	s_delay_alu instid0(SALU_CYCLE_1)
	s_sub_co_i32 s39, s37, s36
	s_cmp_ge_u32 s37, s36
	s_cselect_b32 s29, s38, s29
	s_cselect_b32 s37, s39, s37
	s_add_co_i32 s38, s29, 1
	s_cmp_ge_u32 s37, s36
	s_cselect_b32 s29, s38, s29
	s_lshl_b64 s[12:13], s[12:13], 2
	v_lshl_add_u32 v1, s29, 6, v0
	s_lshl_b64 s[20:21], s[20:21], 2
	s_mul_i32 s29, s29, s36
	s_add_nc_u64 s[10:11], s[10:11], s[12:13]
	s_add_nc_u64 s[12:13], s[18:19], s[20:21]
	v_or_b32_e32 v15, v1, v2
	v_ashrrev_i32_e32 v11, 31, v1
	v_or_b32_e32 v17, 1, v1
	s_wait_alu 0xfffe
	s_sub_co_i32 s20, ttmp9, s29
	s_wait_kmcnt 0x0
	s_lshl_b64 s[4:5], s[4:5], 2
	v_mad_co_u64_u32 v[9:10], null, s22, v15, 0
	v_mul_lo_u32 v19, s14, v11
	v_mad_co_u64_u32 v[11:12], null, s14, v17, 0
	s_add_nc_u64 s[18:19], s[2:3], s[4:5]
	v_cmp_gt_i32_e64 s2, s35, v1
	v_mul_lo_u32 v16, s15, v1
	v_mul_lo_u32 v21, s15, v17
	v_cmp_gt_u32_e64 s4, s35, v15
	v_cmp_gt_i32_e64 s5, s35, v17
	v_mad_co_u64_u32 v[13:14], null, s23, v15, v[10:11]
	s_mov_b32 s29, 0
	v_add3_u32 v12, v12, v19, v21
	v_dual_mov_b32 v10, v13 :: v_dual_mov_b32 v13, 0
	v_lshlrev_b32_e32 v3, 2, v2
	v_lshl_add_u32 v0, s20, 5, v2
	v_cmp_gt_u32_e64 s1, 2, v2
	s_delay_alu instid0(VALU_DEP_3)
	v_add_nc_u32_e32 v5, 0x100, v3
	v_add_nc_u32_e32 v6, v4, v3
	v_mad_co_u64_u32 v[2:3], null, s14, v1, 0
	v_ashrrev_i32_e32 v1, 31, v0
	v_mul_lo_u32 v18, s7, v0
	v_mad_co_u64_u32 v[7:8], null, s6, v0, 0
	v_cmp_gt_i32_e64 s3, s34, v0
	s_delay_alu instid0(VALU_DEP_4) | instskip(SKIP_2) | instid1(VALU_DEP_3)
	v_mul_lo_u32 v20, s6, v1
	v_lshlrev_b64_e32 v[0:1], 2, v[0:1]
	v_add3_u32 v3, v3, v19, v16
	v_add3_u32 v8, v8, v20, v18
	s_delay_alu instid0(VALU_DEP_1) | instskip(NEXT) | instid1(VALU_DEP_4)
	v_lshlrev_b64_e32 v[14:15], 2, v[7:8]
	v_add_co_u32 v7, vcc_lo, s10, v0
	s_delay_alu instid0(VALU_DEP_1)
	v_add_co_ci_u32_e64 v8, null, s11, v1, vcc_lo
	v_lshlrev_b64_e32 v[0:1], 2, v[2:3]
	v_lshlrev_b64_e32 v[2:3], 2, v[11:12]
	;; [unrolled: 1-line block ×3, first 2 shown]
	v_add_co_u32 v9, vcc_lo, s18, v14
	s_wait_alu 0xfffd
	v_add_co_ci_u32_e64 v10, null, s19, v15, vcc_lo
	s_delay_alu instid0(VALU_DEP_3)
	v_add_co_u32 v11, vcc_lo, s12, v11
	s_wait_alu 0xfffd
	v_add_co_ci_u32_e64 v12, null, s13, v12, vcc_lo
	s_branch .LBB5_4
.LBB5_2:                                ;   in Loop: Header=BB5_4 Depth=1
	s_wait_alu 0xfffe
	s_or_b32 exec_lo, exec_lo, s6
.LBB5_3:                                ;   in Loop: Header=BB5_4 Depth=1
	s_add_co_i32 s28, s28, 0x10000
	s_wait_alu 0xfffe
	s_cmp_lt_u32 s28, s33
	s_cbranch_scc0 .LBB5_18
.LBB5_4:                                ; =>This Inner Loop Header: Depth=1
	s_wait_alu 0xfffe
	s_mul_u64 s[6:7], s[26:27], s[28:29]
	s_wait_alu 0xfffe
	s_lshl_b64 s[6:7], s[6:7], 2
	s_wait_alu 0xfffe
	s_add_nc_u64 s[6:7], s[24:25], s[6:7]
	global_load_b32 v14, v13, s[6:7]
	s_wait_loadcnt 0x0
	v_cmp_eq_f32_e32 vcc_lo, 0, v14
	s_cbranch_vccnz .LBB5_3
; %bb.5:                                ;   in Loop: Header=BB5_4 Depth=1
	s_and_saveexec_b32 s6, s0
	s_cbranch_execz .LBB5_9
; %bb.6:                                ;   in Loop: Header=BB5_4 Depth=1
	v_mov_b32_e32 v15, 0
	s_and_saveexec_b32 s7, s3
	s_cbranch_execz .LBB5_8
; %bb.7:                                ;   in Loop: Header=BB5_4 Depth=1
	s_mul_u64 s[10:11], s[16:17], s[28:29]
	s_wait_alu 0xfffe
	s_lshl_b64 s[10:11], s[10:11], 2
	s_wait_alu 0xfffe
	v_add_co_u32 v15, vcc_lo, v9, s10
	s_wait_alu 0xfffd
	v_add_co_ci_u32_e64 v16, null, s11, v10, vcc_lo
	global_load_b32 v15, v[15:16], off
.LBB5_8:                                ;   in Loop: Header=BB5_4 Depth=1
	s_wait_alu 0xfffe
	s_or_b32 exec_lo, exec_lo, s7
	s_wait_loadcnt 0x0
	ds_store_b32 v5, v15
.LBB5_9:                                ;   in Loop: Header=BB5_4 Depth=1
	s_wait_alu 0xfffe
	s_or_b32 exec_lo, exec_lo, s6
	s_and_saveexec_b32 s6, s1
	s_cbranch_execz .LBB5_13
; %bb.10:                               ;   in Loop: Header=BB5_4 Depth=1
	v_mov_b32_e32 v15, 0
	s_and_saveexec_b32 s7, s4
	s_cbranch_execz .LBB5_12
; %bb.11:                               ;   in Loop: Header=BB5_4 Depth=1
	s_mul_u64 s[10:11], s[8:9], s[28:29]
	s_wait_alu 0xfffe
	s_lshl_b64 s[10:11], s[10:11], 2
	s_wait_alu 0xfffe
	v_add_co_u32 v15, vcc_lo, v11, s10
	s_wait_alu 0xfffd
	v_add_co_ci_u32_e64 v16, null, s11, v12, vcc_lo
	global_load_b32 v15, v[15:16], off
.LBB5_12:                               ;   in Loop: Header=BB5_4 Depth=1
	s_wait_alu 0xfffe
	s_or_b32 exec_lo, exec_lo, s7
	s_wait_loadcnt 0x0
	ds_store_b32 v6, v15
.LBB5_13:                               ;   in Loop: Header=BB5_4 Depth=1
	s_wait_alu 0xfffe
	s_or_b32 exec_lo, exec_lo, s6
	s_wait_dscnt 0x0
	s_barrier_signal -1
	s_barrier_wait -1
	global_inv scope:SCOPE_SE
	s_and_saveexec_b32 s6, s3
	s_cbranch_execz .LBB5_2
; %bb.14:                               ;   in Loop: Header=BB5_4 Depth=1
	ds_load_b32 v15, v5
	s_mul_u64 s[10:11], s[30:31], s[28:29]
	s_wait_alu 0xfffe
	s_lshl_b64 s[10:11], s[10:11], 2
	s_wait_dscnt 0x0
	v_mul_f32_e32 v14, v14, v15
	s_wait_alu 0xfffe
	v_add_co_u32 v15, vcc_lo, v7, s10
	s_wait_alu 0xfffd
	v_add_co_ci_u32_e64 v16, null, s11, v8, vcc_lo
	s_and_saveexec_b32 s7, s2
	s_cbranch_execz .LBB5_16
; %bb.15:                               ;   in Loop: Header=BB5_4 Depth=1
	v_add_co_u32 v17, vcc_lo, v15, v0
	s_wait_alu 0xfffd
	v_add_co_ci_u32_e64 v18, null, v16, v1, vcc_lo
	ds_load_b32 v20, v4
	global_load_b32 v19, v[17:18], off
	s_wait_loadcnt_dscnt 0x0
	v_fmac_f32_e32 v19, v14, v20
	global_store_b32 v[17:18], v19, off
.LBB5_16:                               ;   in Loop: Header=BB5_4 Depth=1
	s_wait_alu 0xfffe
	s_or_b32 exec_lo, exec_lo, s7
	s_delay_alu instid0(SALU_CYCLE_1)
	s_and_b32 exec_lo, exec_lo, s5
	s_cbranch_execz .LBB5_2
; %bb.17:                               ;   in Loop: Header=BB5_4 Depth=1
	v_add_co_u32 v15, vcc_lo, v15, v2
	s_wait_alu 0xfffd
	v_add_co_ci_u32_e64 v16, null, v16, v3, vcc_lo
	ds_load_b32 v18, v4 offset:4
	global_load_b32 v17, v[15:16], off
	s_wait_loadcnt_dscnt 0x0
	v_fmac_f32_e32 v17, v14, v18
	global_store_b32 v[15:16], v17, off
	s_branch .LBB5_2
.LBB5_18:
	s_endpgm
	.section	.rodata,"a",@progbits
	.p2align	6, 0x0
	.amdhsa_kernel _ZL18rocblas_ger_kernelILi32ELi32ELi2ELb0EfPKfS1_PfEviiT4_lT5_lllS4_lllT6_lmli
		.amdhsa_group_segment_fixed_size 384
		.amdhsa_private_segment_fixed_size 0
		.amdhsa_kernarg_size 124
		.amdhsa_user_sgpr_count 2
		.amdhsa_user_sgpr_dispatch_ptr 0
		.amdhsa_user_sgpr_queue_ptr 0
		.amdhsa_user_sgpr_kernarg_segment_ptr 1
		.amdhsa_user_sgpr_dispatch_id 0
		.amdhsa_user_sgpr_private_segment_size 0
		.amdhsa_wavefront_size32 1
		.amdhsa_uses_dynamic_stack 0
		.amdhsa_enable_private_segment 0
		.amdhsa_system_sgpr_workgroup_id_x 1
		.amdhsa_system_sgpr_workgroup_id_y 0
		.amdhsa_system_sgpr_workgroup_id_z 1
		.amdhsa_system_sgpr_workgroup_info 0
		.amdhsa_system_vgpr_workitem_id 1
		.amdhsa_next_free_vgpr 22
		.amdhsa_next_free_sgpr 40
		.amdhsa_reserve_vcc 1
		.amdhsa_float_round_mode_32 0
		.amdhsa_float_round_mode_16_64 0
		.amdhsa_float_denorm_mode_32 3
		.amdhsa_float_denorm_mode_16_64 3
		.amdhsa_fp16_overflow 0
		.amdhsa_workgroup_processor_mode 1
		.amdhsa_memory_ordered 1
		.amdhsa_forward_progress 1
		.amdhsa_inst_pref_size 9
		.amdhsa_round_robin_scheduling 0
		.amdhsa_exception_fp_ieee_invalid_op 0
		.amdhsa_exception_fp_denorm_src 0
		.amdhsa_exception_fp_ieee_div_zero 0
		.amdhsa_exception_fp_ieee_overflow 0
		.amdhsa_exception_fp_ieee_underflow 0
		.amdhsa_exception_fp_ieee_inexact 0
		.amdhsa_exception_int_div_zero 0
	.end_amdhsa_kernel
	.section	.text._ZL18rocblas_ger_kernelILi32ELi32ELi2ELb0EfPKfS1_PfEviiT4_lT5_lllS4_lllT6_lmli,"axG",@progbits,_ZL18rocblas_ger_kernelILi32ELi32ELi2ELb0EfPKfS1_PfEviiT4_lT5_lllS4_lllT6_lmli,comdat
.Lfunc_end5:
	.size	_ZL18rocblas_ger_kernelILi32ELi32ELi2ELb0EfPKfS1_PfEviiT4_lT5_lllS4_lllT6_lmli, .Lfunc_end5-_ZL18rocblas_ger_kernelILi32ELi32ELi2ELb0EfPKfS1_PfEviiT4_lT5_lllS4_lllT6_lmli
                                        ; -- End function
	.set _ZL18rocblas_ger_kernelILi32ELi32ELi2ELb0EfPKfS1_PfEviiT4_lT5_lllS4_lllT6_lmli.num_vgpr, 22
	.set _ZL18rocblas_ger_kernelILi32ELi32ELi2ELb0EfPKfS1_PfEviiT4_lT5_lllS4_lllT6_lmli.num_agpr, 0
	.set _ZL18rocblas_ger_kernelILi32ELi32ELi2ELb0EfPKfS1_PfEviiT4_lT5_lllS4_lllT6_lmli.numbered_sgpr, 40
	.set _ZL18rocblas_ger_kernelILi32ELi32ELi2ELb0EfPKfS1_PfEviiT4_lT5_lllS4_lllT6_lmli.num_named_barrier, 0
	.set _ZL18rocblas_ger_kernelILi32ELi32ELi2ELb0EfPKfS1_PfEviiT4_lT5_lllS4_lllT6_lmli.private_seg_size, 0
	.set _ZL18rocblas_ger_kernelILi32ELi32ELi2ELb0EfPKfS1_PfEviiT4_lT5_lllS4_lllT6_lmli.uses_vcc, 1
	.set _ZL18rocblas_ger_kernelILi32ELi32ELi2ELb0EfPKfS1_PfEviiT4_lT5_lllS4_lllT6_lmli.uses_flat_scratch, 0
	.set _ZL18rocblas_ger_kernelILi32ELi32ELi2ELb0EfPKfS1_PfEviiT4_lT5_lllS4_lllT6_lmli.has_dyn_sized_stack, 0
	.set _ZL18rocblas_ger_kernelILi32ELi32ELi2ELb0EfPKfS1_PfEviiT4_lT5_lllS4_lllT6_lmli.has_recursion, 0
	.set _ZL18rocblas_ger_kernelILi32ELi32ELi2ELb0EfPKfS1_PfEviiT4_lT5_lllS4_lllT6_lmli.has_indirect_call, 0
	.section	.AMDGPU.csdata,"",@progbits
; Kernel info:
; codeLenInByte = 1112
; TotalNumSgprs: 42
; NumVgprs: 22
; ScratchSize: 0
; MemoryBound: 0
; FloatMode: 240
; IeeeMode: 1
; LDSByteSize: 384 bytes/workgroup (compile time only)
; SGPRBlocks: 0
; VGPRBlocks: 2
; NumSGPRsForWavesPerEU: 42
; NumVGPRsForWavesPerEU: 22
; Occupancy: 16
; WaveLimiterHint : 0
; COMPUTE_PGM_RSRC2:SCRATCH_EN: 0
; COMPUTE_PGM_RSRC2:USER_SGPR: 2
; COMPUTE_PGM_RSRC2:TRAP_HANDLER: 0
; COMPUTE_PGM_RSRC2:TGID_X_EN: 1
; COMPUTE_PGM_RSRC2:TGID_Y_EN: 0
; COMPUTE_PGM_RSRC2:TGID_Z_EN: 1
; COMPUTE_PGM_RSRC2:TIDIG_COMP_CNT: 1
	.section	.text._ZL18rocblas_ger_kernelILi32ELi32ELi2ELb0EffPKfPfEviiT4_lT5_lllS4_lllT6_lmli,"axG",@progbits,_ZL18rocblas_ger_kernelILi32ELi32ELi2ELb0EffPKfPfEviiT4_lT5_lllS4_lllT6_lmli,comdat
	.globl	_ZL18rocblas_ger_kernelILi32ELi32ELi2ELb0EffPKfPfEviiT4_lT5_lllS4_lllT6_lmli ; -- Begin function _ZL18rocblas_ger_kernelILi32ELi32ELi2ELb0EffPKfPfEviiT4_lT5_lllS4_lllT6_lmli
	.p2align	8
	.type	_ZL18rocblas_ger_kernelILi32ELi32ELi2ELb0EffPKfPfEviiT4_lT5_lllS4_lllT6_lmli,@function
_ZL18rocblas_ger_kernelILi32ELi32ELi2ELb0EffPKfPfEviiT4_lT5_lllS4_lllT6_lmli: ; @_ZL18rocblas_ger_kernelILi32ELi32ELi2ELb0EffPKfPfEviiT4_lT5_lllS4_lllT6_lmli
; %bb.0:
	s_load_b32 s27, s[0:1], 0x78
	s_lshr_b32 s28, ttmp7, 16
	s_wait_kmcnt 0x0
	s_cmp_ge_u32 s28, s27
	s_cbranch_scc1 .LBB6_18
; %bb.1:
	s_load_b96 s[24:26], s[0:1], 0x0
	v_and_b32_e32 v2, 0x3ff, v0
	s_wait_kmcnt 0x0
	s_add_co_i32 s2, s24, -1
	s_delay_alu instid0(SALU_CYCLE_1) | instskip(NEXT) | instid1(SALU_CYCLE_1)
	s_ashr_i32 s3, s2, 31
	s_lshr_b32 s3, s3, 27
	s_delay_alu instid0(SALU_CYCLE_1) | instskip(NEXT) | instid1(SALU_CYCLE_1)
	s_add_co_i32 s2, s2, s3
	s_ashr_i32 s29, s2, 5
	s_delay_alu instid0(SALU_CYCLE_1) | instskip(NEXT) | instid1(SALU_CYCLE_1)
	s_add_co_i32 s33, s29, 1
	s_cvt_f32_u32 s2, s33
	s_delay_alu instid0(SALU_CYCLE_3) | instskip(SKIP_3) | instid1(TRANS32_DEP_1)
	v_rcp_iflag_f32_e32 v1, s2
	s_clause 0x1
	s_load_b64 s[2:3], s[0:1], 0x18
	s_load_b256 s[8:15], s[0:1], 0x50
	v_readfirstlane_b32 s4, v1
	v_bfe_u32 v1, v0, 10, 10
	s_mul_f32 s30, s4, 0x4f7ffffe
	s_clause 0x1
	s_load_b256 s[16:23], s[0:1], 0x30
	s_load_b128 s[4:7], s[0:1], 0x20
	v_lshlrev_b32_e32 v0, 1, v1
	v_lshlrev_b32_e32 v4, 3, v1
	s_cvt_u32_f32 s34, s30
	s_load_b64 s[30:31], s[0:1], 0x70
	s_not_b32 s0, s29
	s_delay_alu instid0(SALU_CYCLE_1) | instskip(NEXT) | instid1(SALU_CYCLE_1)
	s_mul_i32 s0, s0, s34
	s_mul_hi_u32 s1, s34, s0
	v_cmp_eq_u32_e64 s0, 0, v1
	s_add_co_i32 s34, s34, s1
	v_cmp_gt_u32_e64 s1, 2, v2
	s_mul_hi_u32 s29, ttmp9, s34
	s_delay_alu instid0(SALU_CYCLE_1) | instskip(SKIP_2) | instid1(SALU_CYCLE_1)
	s_mul_i32 s34, s29, s33
	s_add_co_i32 s35, s29, 1
	s_sub_co_i32 s34, ttmp9, s34
	s_sub_co_i32 s36, s34, s33
	s_cmp_ge_u32 s34, s33
	s_cselect_b32 s29, s35, s29
	s_cselect_b32 s34, s36, s34
	s_add_co_i32 s35, s29, 1
	s_cmp_ge_u32 s34, s33
	s_cselect_b32 s29, s35, s29
	s_wait_kmcnt 0x0
	s_lshl_b64 s[12:13], s[12:13], 2
	v_lshl_add_u32 v1, s29, 6, v0
	s_lshl_b64 s[20:21], s[20:21], 2
	s_lshl_b64 s[4:5], s[4:5], 2
	s_mul_i32 s29, s29, s33
	s_add_nc_u64 s[10:11], s[10:11], s[12:13]
	v_or_b32_e32 v15, v1, v2
	v_ashrrev_i32_e32 v11, 31, v1
	v_or_b32_e32 v17, 1, v1
	s_add_nc_u64 s[12:13], s[18:19], s[20:21]
	s_add_nc_u64 s[18:19], s[2:3], s[4:5]
	v_mad_co_u64_u32 v[9:10], null, s22, v15, 0
	v_mul_lo_u32 v19, s14, v11
	v_mad_co_u64_u32 v[11:12], null, s14, v17, 0
	s_wait_alu 0xfffe
	s_sub_co_i32 s2, ttmp9, s29
	v_mul_lo_u32 v16, s15, v1
	s_wait_alu 0xfffe
	v_lshl_add_u32 v0, s2, 5, v2
	v_cmp_gt_i32_e64 s2, s25, v1
	v_mul_lo_u32 v21, s15, v17
	v_cmp_gt_u32_e64 s4, s25, v15
	v_mad_co_u64_u32 v[13:14], null, s23, v15, v[10:11]
	v_lshlrev_b32_e32 v3, 2, v2
	v_mul_lo_u32 v18, s7, v0
	v_mad_co_u64_u32 v[7:8], null, s6, v0, 0
	v_cmp_gt_i32_e64 s3, s24, v0
	v_add3_u32 v12, v12, v19, v21
	v_dual_mov_b32 v10, v13 :: v_dual_add_nc_u32 v5, 0x100, v3
	v_add_nc_u32_e32 v6, v4, v3
	v_mad_co_u64_u32 v[2:3], null, s14, v1, 0
	v_ashrrev_i32_e32 v1, 31, v0
	s_cmp_neq_f32 s26, 0
	v_cmp_gt_i32_e64 s5, s25, v17
	s_mov_b32 s29, 0
	v_mul_lo_u32 v20, s6, v1
	v_lshlrev_b64_e32 v[0:1], 2, v[0:1]
	v_add3_u32 v3, v3, v19, v16
	s_cselect_b32 s6, -1, 0
	s_delay_alu instid0(VALU_DEP_3) | instskip(NEXT) | instid1(VALU_DEP_1)
	v_add3_u32 v8, v8, v20, v18
	v_lshlrev_b64_e32 v[14:15], 2, v[7:8]
	s_delay_alu instid0(VALU_DEP_4) | instskip(NEXT) | instid1(VALU_DEP_1)
	v_add_co_u32 v7, vcc_lo, s10, v0
	v_add_co_ci_u32_e64 v8, null, s11, v1, vcc_lo
	v_lshlrev_b64_e32 v[0:1], 2, v[2:3]
	v_lshlrev_b64_e32 v[2:3], 2, v[11:12]
	;; [unrolled: 1-line block ×3, first 2 shown]
	v_add_co_u32 v9, vcc_lo, s18, v14
	s_wait_alu 0xfffd
	v_add_co_ci_u32_e64 v10, null, s19, v15, vcc_lo
	s_delay_alu instid0(VALU_DEP_3)
	v_add_co_u32 v11, vcc_lo, s12, v11
	s_wait_alu 0xfffd
	v_add_co_ci_u32_e64 v12, null, s13, v12, vcc_lo
	s_branch .LBB6_4
.LBB6_2:                                ;   in Loop: Header=BB6_4 Depth=1
	s_wait_alu 0xfffe
	s_or_b32 exec_lo, exec_lo, s7
.LBB6_3:                                ;   in Loop: Header=BB6_4 Depth=1
	s_add_co_i32 s28, s28, 0x10000
	s_wait_alu 0xfffe
	s_cmp_lt_u32 s28, s27
	s_cbranch_scc0 .LBB6_18
.LBB6_4:                                ; =>This Inner Loop Header: Depth=1
	s_wait_alu 0xfffe
	s_and_not1_b32 vcc_lo, exec_lo, s6
	s_wait_alu 0xfffe
	s_cbranch_vccnz .LBB6_3
; %bb.5:                                ;   in Loop: Header=BB6_4 Depth=1
	s_and_saveexec_b32 s7, s0
	s_cbranch_execz .LBB6_9
; %bb.6:                                ;   in Loop: Header=BB6_4 Depth=1
	v_mov_b32_e32 v13, 0
	s_and_saveexec_b32 s10, s3
	s_cbranch_execz .LBB6_8
; %bb.7:                                ;   in Loop: Header=BB6_4 Depth=1
	s_mul_u64 s[12:13], s[16:17], s[28:29]
	s_wait_alu 0xfffe
	s_lshl_b64 s[12:13], s[12:13], 2
	s_wait_alu 0xfffe
	v_add_co_u32 v13, vcc_lo, v9, s12
	s_wait_alu 0xfffd
	v_add_co_ci_u32_e64 v14, null, s13, v10, vcc_lo
	global_load_b32 v13, v[13:14], off
.LBB6_8:                                ;   in Loop: Header=BB6_4 Depth=1
	s_wait_alu 0xfffe
	s_or_b32 exec_lo, exec_lo, s10
	s_wait_loadcnt 0x0
	ds_store_b32 v5, v13
.LBB6_9:                                ;   in Loop: Header=BB6_4 Depth=1
	s_wait_alu 0xfffe
	s_or_b32 exec_lo, exec_lo, s7
	s_and_saveexec_b32 s7, s1
	s_cbranch_execz .LBB6_13
; %bb.10:                               ;   in Loop: Header=BB6_4 Depth=1
	v_mov_b32_e32 v13, 0
	s_and_saveexec_b32 s10, s4
	s_cbranch_execz .LBB6_12
; %bb.11:                               ;   in Loop: Header=BB6_4 Depth=1
	s_mul_u64 s[12:13], s[8:9], s[28:29]
	s_wait_alu 0xfffe
	s_lshl_b64 s[12:13], s[12:13], 2
	s_wait_alu 0xfffe
	v_add_co_u32 v13, vcc_lo, v11, s12
	s_wait_alu 0xfffd
	v_add_co_ci_u32_e64 v14, null, s13, v12, vcc_lo
	global_load_b32 v13, v[13:14], off
.LBB6_12:                               ;   in Loop: Header=BB6_4 Depth=1
	s_wait_alu 0xfffe
	s_or_b32 exec_lo, exec_lo, s10
	s_wait_loadcnt 0x0
	ds_store_b32 v6, v13
.LBB6_13:                               ;   in Loop: Header=BB6_4 Depth=1
	s_wait_alu 0xfffe
	s_or_b32 exec_lo, exec_lo, s7
	s_wait_dscnt 0x0
	s_barrier_signal -1
	s_barrier_wait -1
	global_inv scope:SCOPE_SE
	s_and_saveexec_b32 s7, s3
	s_cbranch_execz .LBB6_2
; %bb.14:                               ;   in Loop: Header=BB6_4 Depth=1
	ds_load_b32 v13, v5
	s_mul_u64 s[10:11], s[30:31], s[28:29]
	s_wait_alu 0xfffe
	s_lshl_b64 s[10:11], s[10:11], 2
	s_wait_alu 0xfffe
	v_add_co_u32 v14, vcc_lo, v7, s10
	s_wait_alu 0xfffd
	v_add_co_ci_u32_e64 v15, null, s11, v8, vcc_lo
	s_wait_dscnt 0x0
	v_mul_f32_e32 v13, s26, v13
	s_and_saveexec_b32 s10, s2
	s_cbranch_execz .LBB6_16
; %bb.15:                               ;   in Loop: Header=BB6_4 Depth=1
	v_add_co_u32 v16, vcc_lo, v14, v0
	s_wait_alu 0xfffd
	v_add_co_ci_u32_e64 v17, null, v15, v1, vcc_lo
	ds_load_b32 v19, v4
	global_load_b32 v18, v[16:17], off
	s_wait_loadcnt_dscnt 0x0
	v_fmac_f32_e32 v18, v13, v19
	global_store_b32 v[16:17], v18, off
.LBB6_16:                               ;   in Loop: Header=BB6_4 Depth=1
	s_wait_alu 0xfffe
	s_or_b32 exec_lo, exec_lo, s10
	s_delay_alu instid0(SALU_CYCLE_1)
	s_and_b32 exec_lo, exec_lo, s5
	s_cbranch_execz .LBB6_2
; %bb.17:                               ;   in Loop: Header=BB6_4 Depth=1
	v_add_co_u32 v14, vcc_lo, v14, v2
	s_wait_alu 0xfffd
	v_add_co_ci_u32_e64 v15, null, v15, v3, vcc_lo
	ds_load_b32 v17, v4 offset:4
	global_load_b32 v16, v[14:15], off
	s_wait_loadcnt_dscnt 0x0
	v_fmac_f32_e32 v16, v13, v17
	global_store_b32 v[14:15], v16, off
	s_branch .LBB6_2
.LBB6_18:
	s_endpgm
	.section	.rodata,"a",@progbits
	.p2align	6, 0x0
	.amdhsa_kernel _ZL18rocblas_ger_kernelILi32ELi32ELi2ELb0EffPKfPfEviiT4_lT5_lllS4_lllT6_lmli
		.amdhsa_group_segment_fixed_size 384
		.amdhsa_private_segment_fixed_size 0
		.amdhsa_kernarg_size 124
		.amdhsa_user_sgpr_count 2
		.amdhsa_user_sgpr_dispatch_ptr 0
		.amdhsa_user_sgpr_queue_ptr 0
		.amdhsa_user_sgpr_kernarg_segment_ptr 1
		.amdhsa_user_sgpr_dispatch_id 0
		.amdhsa_user_sgpr_private_segment_size 0
		.amdhsa_wavefront_size32 1
		.amdhsa_uses_dynamic_stack 0
		.amdhsa_enable_private_segment 0
		.amdhsa_system_sgpr_workgroup_id_x 1
		.amdhsa_system_sgpr_workgroup_id_y 0
		.amdhsa_system_sgpr_workgroup_id_z 1
		.amdhsa_system_sgpr_workgroup_info 0
		.amdhsa_system_vgpr_workitem_id 1
		.amdhsa_next_free_vgpr 22
		.amdhsa_next_free_sgpr 37
		.amdhsa_reserve_vcc 1
		.amdhsa_float_round_mode_32 0
		.amdhsa_float_round_mode_16_64 0
		.amdhsa_float_denorm_mode_32 3
		.amdhsa_float_denorm_mode_16_64 3
		.amdhsa_fp16_overflow 0
		.amdhsa_workgroup_processor_mode 1
		.amdhsa_memory_ordered 1
		.amdhsa_forward_progress 1
		.amdhsa_inst_pref_size 9
		.amdhsa_round_robin_scheduling 0
		.amdhsa_exception_fp_ieee_invalid_op 0
		.amdhsa_exception_fp_denorm_src 0
		.amdhsa_exception_fp_ieee_div_zero 0
		.amdhsa_exception_fp_ieee_overflow 0
		.amdhsa_exception_fp_ieee_underflow 0
		.amdhsa_exception_fp_ieee_inexact 0
		.amdhsa_exception_int_div_zero 0
	.end_amdhsa_kernel
	.section	.text._ZL18rocblas_ger_kernelILi32ELi32ELi2ELb0EffPKfPfEviiT4_lT5_lllS4_lllT6_lmli,"axG",@progbits,_ZL18rocblas_ger_kernelILi32ELi32ELi2ELb0EffPKfPfEviiT4_lT5_lllS4_lllT6_lmli,comdat
.Lfunc_end6:
	.size	_ZL18rocblas_ger_kernelILi32ELi32ELi2ELb0EffPKfPfEviiT4_lT5_lllS4_lllT6_lmli, .Lfunc_end6-_ZL18rocblas_ger_kernelILi32ELi32ELi2ELb0EffPKfPfEviiT4_lT5_lllS4_lllT6_lmli
                                        ; -- End function
	.set _ZL18rocblas_ger_kernelILi32ELi32ELi2ELb0EffPKfPfEviiT4_lT5_lllS4_lllT6_lmli.num_vgpr, 22
	.set _ZL18rocblas_ger_kernelILi32ELi32ELi2ELb0EffPKfPfEviiT4_lT5_lllS4_lllT6_lmli.num_agpr, 0
	.set _ZL18rocblas_ger_kernelILi32ELi32ELi2ELb0EffPKfPfEviiT4_lT5_lllS4_lllT6_lmli.numbered_sgpr, 37
	.set _ZL18rocblas_ger_kernelILi32ELi32ELi2ELb0EffPKfPfEviiT4_lT5_lllS4_lllT6_lmli.num_named_barrier, 0
	.set _ZL18rocblas_ger_kernelILi32ELi32ELi2ELb0EffPKfPfEviiT4_lT5_lllS4_lllT6_lmli.private_seg_size, 0
	.set _ZL18rocblas_ger_kernelILi32ELi32ELi2ELb0EffPKfPfEviiT4_lT5_lllS4_lllT6_lmli.uses_vcc, 1
	.set _ZL18rocblas_ger_kernelILi32ELi32ELi2ELb0EffPKfPfEviiT4_lT5_lllS4_lllT6_lmli.uses_flat_scratch, 0
	.set _ZL18rocblas_ger_kernelILi32ELi32ELi2ELb0EffPKfPfEviiT4_lT5_lllS4_lllT6_lmli.has_dyn_sized_stack, 0
	.set _ZL18rocblas_ger_kernelILi32ELi32ELi2ELb0EffPKfPfEviiT4_lT5_lllS4_lllT6_lmli.has_recursion, 0
	.set _ZL18rocblas_ger_kernelILi32ELi32ELi2ELb0EffPKfPfEviiT4_lT5_lllS4_lllT6_lmli.has_indirect_call, 0
	.section	.AMDGPU.csdata,"",@progbits
; Kernel info:
; codeLenInByte = 1068
; TotalNumSgprs: 39
; NumVgprs: 22
; ScratchSize: 0
; MemoryBound: 0
; FloatMode: 240
; IeeeMode: 1
; LDSByteSize: 384 bytes/workgroup (compile time only)
; SGPRBlocks: 0
; VGPRBlocks: 2
; NumSGPRsForWavesPerEU: 39
; NumVGPRsForWavesPerEU: 22
; Occupancy: 16
; WaveLimiterHint : 0
; COMPUTE_PGM_RSRC2:SCRATCH_EN: 0
; COMPUTE_PGM_RSRC2:USER_SGPR: 2
; COMPUTE_PGM_RSRC2:TRAP_HANDLER: 0
; COMPUTE_PGM_RSRC2:TGID_X_EN: 1
; COMPUTE_PGM_RSRC2:TGID_Y_EN: 0
; COMPUTE_PGM_RSRC2:TGID_Z_EN: 1
; COMPUTE_PGM_RSRC2:TIDIG_COMP_CNT: 1
	.section	.text._ZL34rocblas_ger_double_buffered_kernelILb0ELi64ELi16ELi2Ed24rocblas_internal_val_ptrIdEPKdPdEvbiiT4_lT5_lllS6_lllT6_lmli,"axG",@progbits,_ZL34rocblas_ger_double_buffered_kernelILb0ELi64ELi16ELi2Ed24rocblas_internal_val_ptrIdEPKdPdEvbiiT4_lT5_lllS6_lllT6_lmli,comdat
	.globl	_ZL34rocblas_ger_double_buffered_kernelILb0ELi64ELi16ELi2Ed24rocblas_internal_val_ptrIdEPKdPdEvbiiT4_lT5_lllS6_lllT6_lmli ; -- Begin function _ZL34rocblas_ger_double_buffered_kernelILb0ELi64ELi16ELi2Ed24rocblas_internal_val_ptrIdEPKdPdEvbiiT4_lT5_lllS6_lllT6_lmli
	.p2align	8
	.type	_ZL34rocblas_ger_double_buffered_kernelILb0ELi64ELi16ELi2Ed24rocblas_internal_val_ptrIdEPKdPdEvbiiT4_lT5_lllS6_lllT6_lmli,@function
_ZL34rocblas_ger_double_buffered_kernelILb0ELi64ELi16ELi2Ed24rocblas_internal_val_ptrIdEPKdPdEvbiiT4_lT5_lllS6_lllT6_lmli: ; @_ZL34rocblas_ger_double_buffered_kernelILb0ELi64ELi16ELi2Ed24rocblas_internal_val_ptrIdEPKdPdEvbiiT4_lT5_lllS6_lllT6_lmli
; %bb.0:
	s_load_b32 s28, s[0:1], 0x80
	s_lshr_b32 s2, ttmp7, 16
	s_wait_kmcnt 0x0
	s_cmp_ge_u32 s2, s28
	s_cbranch_scc1 .LBB7_7
; %bb.1:
	s_clause 0x2
	s_load_b256 s[4:11], s[0:1], 0x58
	s_load_b128 s[24:27], s[0:1], 0x28
	s_load_b256 s[12:19], s[0:1], 0x38
	v_and_b32_e32 v11, 31, v0
	v_lshrrev_b32_e32 v1, 4, v0
	s_clause 0x2
	s_load_b32 s29, s[0:1], 0x0
	s_load_b128 s[20:23], s[0:1], 0x10
	s_load_b64 s[30:31], s[0:1], 0x20
	v_or_b32_e32 v14, 32, v11
	v_and_b32_e32 v1, 0xffc0, v1
	s_mov_b32 s3, 0
	s_load_b64 s[0:1], s[0:1], 0x78
	s_wait_kmcnt 0x0
	v_mad_co_u64_u32 v[4:5], null, s26, v14, 0
	v_and_b32_e32 v2, 0x3ff, v0
	s_bitcmp1_b32 s29, 0
	s_cselect_b32 s29, -1, 0
	s_delay_alu instid0(VALU_DEP_1)
	v_add_nc_u32_e32 v1, v1, v2
	v_mad_co_u64_u32 v[2:3], null, s26, v11, 0
	s_lshl_b32 s34, ttmp9, 6
	s_lshl_b64 s[16:17], s[16:17], 3
	v_lshrrev_b32_e32 v9, 4, v1
	s_lshl_b64 s[8:9], s[8:9], 3
	s_and_b32 s33, ttmp7, 0xffff
	s_ashr_i32 s35, s34, 31
	s_add_nc_u64 s[16:17], s[14:15], s[16:17]
	v_and_b32_e32 v10, 0x1ffe, v9
	v_or_b32_e32 v15, 1, v9
	s_add_nc_u64 s[6:7], s[6:7], s[8:9]
	s_lshl_b64 s[8:9], s[34:35], 3
	s_lshl_b32 s14, s33, 6
	v_mad_co_u64_u32 v[0:1], null, s10, v10, 0
	v_mad_co_u64_u32 v[12:13], null, s18, v15, 0
	s_mov_b32 s15, s3
	s_add_nc_u64 s[6:7], s[6:7], s[8:9]
	s_mul_u64 s[8:9], s[10:11], s[14:15]
	s_lshl_b64 s[24:25], s[24:25], 3
	v_mad_co_u64_u32 v[6:7], null, s11, v10, v[1:2]
	v_mad_co_u64_u32 v[7:8], null, s27, v11, v[3:4]
	v_mov_b32_e32 v3, v5
	s_lshl_b64 s[8:9], s[8:9], 3
	s_mul_u64 s[14:15], s[18:19], s[14:15]
	s_add_nc_u64 s[6:7], s[6:7], s[8:9]
	s_delay_alu instid0(VALU_DEP_3)
	v_mov_b32_e32 v1, v6
	v_mad_co_u64_u32 v[8:9], null, s18, v10, 0
	v_mad_co_u64_u32 v[5:6], null, s27, v14, v[3:4]
	v_mov_b32_e32 v3, v7
	v_mov_b32_e32 v7, v13
	v_lshlrev_b64_e32 v[0:1], 3, v[0:1]
	s_mul_u64 s[8:9], s[26:27], s[34:35]
	v_mov_b32_e32 v6, v9
	s_add_nc_u64 s[24:25], s[30:31], s[24:25]
	s_lshl_b64 s[8:9], s[8:9], 3
	s_lshl_b64 s[30:31], s[14:15], 3
	v_add_co_u32 v0, vcc_lo, s6, v0
	v_mad_co_u64_u32 v[9:10], null, s19, v10, v[6:7]
	v_mad_co_u64_u32 v[6:7], null, s19, v15, v[7:8]
	v_lshlrev_b32_e32 v7, 3, v11
	v_add_co_ci_u32_e64 v1, null, s7, v1, vcc_lo
	s_xor_b32 s14, s29, -1
	s_add_nc_u64 s[6:7], s[24:25], s[8:9]
	v_add_co_u32 v10, vcc_lo, v0, v7
	v_mov_b32_e32 v13, v6
	s_wait_alu 0xfffd
	v_add_co_ci_u32_e64 v11, null, 0, v1, vcc_lo
	v_lshlrev_b64_e32 v[0:1], 3, v[2:3]
	v_lshlrev_b64_e32 v[2:3], 3, v[4:5]
	;; [unrolled: 1-line block ×4, first 2 shown]
	s_add_nc_u64 s[8:9], s[16:17], s[30:31]
	s_lshl_b64 s[10:11], s[10:11], 3
	s_branch .LBB7_3
.LBB7_2:                                ;   in Loop: Header=BB7_3 Depth=1
	s_or_b32 exec_lo, exec_lo, s15
	s_add_co_i32 s2, s2, 0x10000
	s_delay_alu instid0(SALU_CYCLE_1)
	s_cmp_lt_u32 s2, s28
	s_cbranch_scc0 .LBB7_7
.LBB7_3:                                ; =>This Inner Loop Header: Depth=1
	v_dual_mov_b32 v8, s20 :: v_dual_mov_b32 v9, s21
	s_and_not1_b32 vcc_lo, exec_lo, s14
	s_wait_alu 0xfffe
	s_cbranch_vccnz .LBB7_5
; %bb.4:                                ;   in Loop: Header=BB7_3 Depth=1
	s_mul_u64 s[16:17], s[22:23], s[2:3]
	s_wait_alu 0xfffe
	s_lshl_b64 s[16:17], s[16:17], 3
	s_wait_alu 0xfffe
	s_add_nc_u64 s[16:17], s[20:21], s[16:17]
	s_wait_alu 0xfffe
	v_dual_mov_b32 v8, s16 :: v_dual_mov_b32 v9, s17
	flat_load_b64 v[8:9], v[8:9]
.LBB7_5:                                ;   in Loop: Header=BB7_3 Depth=1
	s_mov_b32 s15, exec_lo
	s_wait_loadcnt_dscnt 0x0
	v_cmpx_neq_f64_e32 0, v[8:9]
	s_cbranch_execz .LBB7_2
; %bb.6:                                ;   in Loop: Header=BB7_3 Depth=1
	s_mul_u64 s[16:17], s[12:13], s[2:3]
	s_mul_u64 s[18:19], s[4:5], s[2:3]
	s_wait_alu 0xfffe
	s_lshl_b64 s[16:17], s[16:17], 3
	s_lshl_b64 s[18:19], s[18:19], 3
	s_wait_alu 0xfffe
	s_add_nc_u64 s[16:17], s[6:7], s[16:17]
	s_wait_alu 0xfffe
	v_add_co_u32 v12, vcc_lo, s16, v0
	s_wait_alu 0xfffd
	v_add_co_ci_u32_e64 v13, null, s17, v1, vcc_lo
	v_add_co_u32 v14, vcc_lo, s16, v2
	s_wait_alu 0xfffd
	v_add_co_ci_u32_e64 v15, null, s17, v3, vcc_lo
	s_clause 0x1
	global_load_b64 v[12:13], v[12:13], off
	global_load_b64 v[14:15], v[14:15], off
	s_mul_u64 s[16:17], s[0:1], s[2:3]
	s_wait_alu 0xfffe
	s_lshl_b64 s[16:17], s[16:17], 3
	s_wait_alu 0xfffe
	v_add_co_u32 v16, vcc_lo, v10, s16
	s_wait_alu 0xfffd
	v_add_co_ci_u32_e64 v17, null, s17, v11, vcc_lo
	s_add_nc_u64 s[16:17], s[8:9], s[18:19]
	s_wait_alu 0xfffe
	v_add_co_u32 v18, vcc_lo, s16, v4
	s_wait_alu 0xfffd
	v_add_co_ci_u32_e64 v19, null, s17, v5, vcc_lo
	v_add_co_u32 v20, vcc_lo, s16, v6
	s_wait_alu 0xfffd
	v_add_co_ci_u32_e64 v21, null, s17, v7, vcc_lo
	v_add_co_u32 v22, vcc_lo, v16, s10
	s_wait_alu 0xfffd
	v_add_co_ci_u32_e64 v23, null, s11, v17, vcc_lo
	s_clause 0x1
	global_load_b64 v[18:19], v[18:19], off
	global_load_b64 v[20:21], v[20:21], off
	s_clause 0x3
	global_load_b64 v[24:25], v[16:17], off
	global_load_b64 v[26:27], v[22:23], off
	global_load_b64 v[28:29], v[22:23], off offset:256
	global_load_b64 v[30:31], v[16:17], off offset:256
	s_wait_loadcnt 0x7
	v_mul_f64_e32 v[12:13], v[8:9], v[12:13]
	s_wait_loadcnt 0x6
	v_mul_f64_e32 v[8:9], v[8:9], v[14:15]
	s_wait_loadcnt 0x3
	s_delay_alu instid0(VALU_DEP_2) | instskip(SKIP_3) | instid1(VALU_DEP_3)
	v_fma_f64 v[14:15], v[12:13], v[18:19], v[24:25]
	s_wait_loadcnt 0x2
	v_fma_f64 v[12:13], v[12:13], v[20:21], v[26:27]
	s_wait_loadcnt 0x0
	v_fma_f64 v[18:19], v[8:9], v[18:19], v[30:31]
	v_fma_f64 v[8:9], v[8:9], v[20:21], v[28:29]
	s_clause 0x3
	global_store_b64 v[16:17], v[14:15], off
	global_store_b64 v[22:23], v[12:13], off
	global_store_b64 v[16:17], v[18:19], off offset:256
	global_store_b64 v[22:23], v[8:9], off offset:256
	s_branch .LBB7_2
.LBB7_7:
	s_endpgm
	.section	.rodata,"a",@progbits
	.p2align	6, 0x0
	.amdhsa_kernel _ZL34rocblas_ger_double_buffered_kernelILb0ELi64ELi16ELi2Ed24rocblas_internal_val_ptrIdEPKdPdEvbiiT4_lT5_lllS6_lllT6_lmli
		.amdhsa_group_segment_fixed_size 0
		.amdhsa_private_segment_fixed_size 0
		.amdhsa_kernarg_size 132
		.amdhsa_user_sgpr_count 2
		.amdhsa_user_sgpr_dispatch_ptr 0
		.amdhsa_user_sgpr_queue_ptr 0
		.amdhsa_user_sgpr_kernarg_segment_ptr 1
		.amdhsa_user_sgpr_dispatch_id 0
		.amdhsa_user_sgpr_private_segment_size 0
		.amdhsa_wavefront_size32 1
		.amdhsa_uses_dynamic_stack 0
		.amdhsa_enable_private_segment 0
		.amdhsa_system_sgpr_workgroup_id_x 1
		.amdhsa_system_sgpr_workgroup_id_y 1
		.amdhsa_system_sgpr_workgroup_id_z 1
		.amdhsa_system_sgpr_workgroup_info 0
		.amdhsa_system_vgpr_workitem_id 1
		.amdhsa_next_free_vgpr 32
		.amdhsa_next_free_sgpr 36
		.amdhsa_reserve_vcc 1
		.amdhsa_float_round_mode_32 0
		.amdhsa_float_round_mode_16_64 0
		.amdhsa_float_denorm_mode_32 3
		.amdhsa_float_denorm_mode_16_64 3
		.amdhsa_fp16_overflow 0
		.amdhsa_workgroup_processor_mode 1
		.amdhsa_memory_ordered 1
		.amdhsa_forward_progress 1
		.amdhsa_inst_pref_size 8
		.amdhsa_round_robin_scheduling 0
		.amdhsa_exception_fp_ieee_invalid_op 0
		.amdhsa_exception_fp_denorm_src 0
		.amdhsa_exception_fp_ieee_div_zero 0
		.amdhsa_exception_fp_ieee_overflow 0
		.amdhsa_exception_fp_ieee_underflow 0
		.amdhsa_exception_fp_ieee_inexact 0
		.amdhsa_exception_int_div_zero 0
	.end_amdhsa_kernel
	.section	.text._ZL34rocblas_ger_double_buffered_kernelILb0ELi64ELi16ELi2Ed24rocblas_internal_val_ptrIdEPKdPdEvbiiT4_lT5_lllS6_lllT6_lmli,"axG",@progbits,_ZL34rocblas_ger_double_buffered_kernelILb0ELi64ELi16ELi2Ed24rocblas_internal_val_ptrIdEPKdPdEvbiiT4_lT5_lllS6_lllT6_lmli,comdat
.Lfunc_end7:
	.size	_ZL34rocblas_ger_double_buffered_kernelILb0ELi64ELi16ELi2Ed24rocblas_internal_val_ptrIdEPKdPdEvbiiT4_lT5_lllS6_lllT6_lmli, .Lfunc_end7-_ZL34rocblas_ger_double_buffered_kernelILb0ELi64ELi16ELi2Ed24rocblas_internal_val_ptrIdEPKdPdEvbiiT4_lT5_lllS6_lllT6_lmli
                                        ; -- End function
	.set _ZL34rocblas_ger_double_buffered_kernelILb0ELi64ELi16ELi2Ed24rocblas_internal_val_ptrIdEPKdPdEvbiiT4_lT5_lllS6_lllT6_lmli.num_vgpr, 32
	.set _ZL34rocblas_ger_double_buffered_kernelILb0ELi64ELi16ELi2Ed24rocblas_internal_val_ptrIdEPKdPdEvbiiT4_lT5_lllS6_lllT6_lmli.num_agpr, 0
	.set _ZL34rocblas_ger_double_buffered_kernelILb0ELi64ELi16ELi2Ed24rocblas_internal_val_ptrIdEPKdPdEvbiiT4_lT5_lllS6_lllT6_lmli.numbered_sgpr, 36
	.set _ZL34rocblas_ger_double_buffered_kernelILb0ELi64ELi16ELi2Ed24rocblas_internal_val_ptrIdEPKdPdEvbiiT4_lT5_lllS6_lllT6_lmli.num_named_barrier, 0
	.set _ZL34rocblas_ger_double_buffered_kernelILb0ELi64ELi16ELi2Ed24rocblas_internal_val_ptrIdEPKdPdEvbiiT4_lT5_lllS6_lllT6_lmli.private_seg_size, 0
	.set _ZL34rocblas_ger_double_buffered_kernelILb0ELi64ELi16ELi2Ed24rocblas_internal_val_ptrIdEPKdPdEvbiiT4_lT5_lllS6_lllT6_lmli.uses_vcc, 1
	.set _ZL34rocblas_ger_double_buffered_kernelILb0ELi64ELi16ELi2Ed24rocblas_internal_val_ptrIdEPKdPdEvbiiT4_lT5_lllS6_lllT6_lmli.uses_flat_scratch, 0
	.set _ZL34rocblas_ger_double_buffered_kernelILb0ELi64ELi16ELi2Ed24rocblas_internal_val_ptrIdEPKdPdEvbiiT4_lT5_lllS6_lllT6_lmli.has_dyn_sized_stack, 0
	.set _ZL34rocblas_ger_double_buffered_kernelILb0ELi64ELi16ELi2Ed24rocblas_internal_val_ptrIdEPKdPdEvbiiT4_lT5_lllS6_lllT6_lmli.has_recursion, 0
	.set _ZL34rocblas_ger_double_buffered_kernelILb0ELi64ELi16ELi2Ed24rocblas_internal_val_ptrIdEPKdPdEvbiiT4_lT5_lllS6_lllT6_lmli.has_indirect_call, 0
	.section	.AMDGPU.csdata,"",@progbits
; Kernel info:
; codeLenInByte = 940
; TotalNumSgprs: 38
; NumVgprs: 32
; ScratchSize: 0
; MemoryBound: 0
; FloatMode: 240
; IeeeMode: 1
; LDSByteSize: 0 bytes/workgroup (compile time only)
; SGPRBlocks: 0
; VGPRBlocks: 3
; NumSGPRsForWavesPerEU: 38
; NumVGPRsForWavesPerEU: 32
; Occupancy: 16
; WaveLimiterHint : 0
; COMPUTE_PGM_RSRC2:SCRATCH_EN: 0
; COMPUTE_PGM_RSRC2:USER_SGPR: 2
; COMPUTE_PGM_RSRC2:TRAP_HANDLER: 0
; COMPUTE_PGM_RSRC2:TGID_X_EN: 1
; COMPUTE_PGM_RSRC2:TGID_Y_EN: 1
; COMPUTE_PGM_RSRC2:TGID_Z_EN: 1
; COMPUTE_PGM_RSRC2:TIDIG_COMP_CNT: 1
	.section	.text._ZL26rocblas_sger_gfx942_kernelILi256EdPKdS1_PdEviiT1_lT2_lllS4_lllT3_lll,"axG",@progbits,_ZL26rocblas_sger_gfx942_kernelILi256EdPKdS1_PdEviiT1_lT2_lllS4_lllT3_lll,comdat
	.globl	_ZL26rocblas_sger_gfx942_kernelILi256EdPKdS1_PdEviiT1_lT2_lllS4_lllT3_lll ; -- Begin function _ZL26rocblas_sger_gfx942_kernelILi256EdPKdS1_PdEviiT1_lT2_lllS4_lllT3_lll
	.p2align	8
	.type	_ZL26rocblas_sger_gfx942_kernelILi256EdPKdS1_PdEviiT1_lT2_lllS4_lllT3_lll,@function
_ZL26rocblas_sger_gfx942_kernelILi256EdPKdS1_PdEviiT1_lT2_lllS4_lllT3_lll: ; @_ZL26rocblas_sger_gfx942_kernelILi256EdPKdS1_PdEviiT1_lT2_lllS4_lllT3_lll
; %bb.0:
	s_endpgm
	.section	.rodata,"a",@progbits
	.p2align	6, 0x0
	.amdhsa_kernel _ZL26rocblas_sger_gfx942_kernelILi256EdPKdS1_PdEviiT1_lT2_lllS4_lllT3_lll
		.amdhsa_group_segment_fixed_size 0
		.amdhsa_private_segment_fixed_size 0
		.amdhsa_kernarg_size 120
		.amdhsa_user_sgpr_count 2
		.amdhsa_user_sgpr_dispatch_ptr 0
		.amdhsa_user_sgpr_queue_ptr 0
		.amdhsa_user_sgpr_kernarg_segment_ptr 1
		.amdhsa_user_sgpr_dispatch_id 0
		.amdhsa_user_sgpr_private_segment_size 0
		.amdhsa_wavefront_size32 1
		.amdhsa_uses_dynamic_stack 0
		.amdhsa_enable_private_segment 0
		.amdhsa_system_sgpr_workgroup_id_x 1
		.amdhsa_system_sgpr_workgroup_id_y 0
		.amdhsa_system_sgpr_workgroup_id_z 0
		.amdhsa_system_sgpr_workgroup_info 0
		.amdhsa_system_vgpr_workitem_id 0
		.amdhsa_next_free_vgpr 1
		.amdhsa_next_free_sgpr 1
		.amdhsa_reserve_vcc 0
		.amdhsa_float_round_mode_32 0
		.amdhsa_float_round_mode_16_64 0
		.amdhsa_float_denorm_mode_32 3
		.amdhsa_float_denorm_mode_16_64 3
		.amdhsa_fp16_overflow 0
		.amdhsa_workgroup_processor_mode 1
		.amdhsa_memory_ordered 1
		.amdhsa_forward_progress 1
		.amdhsa_inst_pref_size 1
		.amdhsa_round_robin_scheduling 0
		.amdhsa_exception_fp_ieee_invalid_op 0
		.amdhsa_exception_fp_denorm_src 0
		.amdhsa_exception_fp_ieee_div_zero 0
		.amdhsa_exception_fp_ieee_overflow 0
		.amdhsa_exception_fp_ieee_underflow 0
		.amdhsa_exception_fp_ieee_inexact 0
		.amdhsa_exception_int_div_zero 0
	.end_amdhsa_kernel
	.section	.text._ZL26rocblas_sger_gfx942_kernelILi256EdPKdS1_PdEviiT1_lT2_lllS4_lllT3_lll,"axG",@progbits,_ZL26rocblas_sger_gfx942_kernelILi256EdPKdS1_PdEviiT1_lT2_lllS4_lllT3_lll,comdat
.Lfunc_end8:
	.size	_ZL26rocblas_sger_gfx942_kernelILi256EdPKdS1_PdEviiT1_lT2_lllS4_lllT3_lll, .Lfunc_end8-_ZL26rocblas_sger_gfx942_kernelILi256EdPKdS1_PdEviiT1_lT2_lllS4_lllT3_lll
                                        ; -- End function
	.set _ZL26rocblas_sger_gfx942_kernelILi256EdPKdS1_PdEviiT1_lT2_lllS4_lllT3_lll.num_vgpr, 0
	.set _ZL26rocblas_sger_gfx942_kernelILi256EdPKdS1_PdEviiT1_lT2_lllS4_lllT3_lll.num_agpr, 0
	.set _ZL26rocblas_sger_gfx942_kernelILi256EdPKdS1_PdEviiT1_lT2_lllS4_lllT3_lll.numbered_sgpr, 0
	.set _ZL26rocblas_sger_gfx942_kernelILi256EdPKdS1_PdEviiT1_lT2_lllS4_lllT3_lll.num_named_barrier, 0
	.set _ZL26rocblas_sger_gfx942_kernelILi256EdPKdS1_PdEviiT1_lT2_lllS4_lllT3_lll.private_seg_size, 0
	.set _ZL26rocblas_sger_gfx942_kernelILi256EdPKdS1_PdEviiT1_lT2_lllS4_lllT3_lll.uses_vcc, 0
	.set _ZL26rocblas_sger_gfx942_kernelILi256EdPKdS1_PdEviiT1_lT2_lllS4_lllT3_lll.uses_flat_scratch, 0
	.set _ZL26rocblas_sger_gfx942_kernelILi256EdPKdS1_PdEviiT1_lT2_lllS4_lllT3_lll.has_dyn_sized_stack, 0
	.set _ZL26rocblas_sger_gfx942_kernelILi256EdPKdS1_PdEviiT1_lT2_lllS4_lllT3_lll.has_recursion, 0
	.set _ZL26rocblas_sger_gfx942_kernelILi256EdPKdS1_PdEviiT1_lT2_lllS4_lllT3_lll.has_indirect_call, 0
	.section	.AMDGPU.csdata,"",@progbits
; Kernel info:
; codeLenInByte = 4
; TotalNumSgprs: 0
; NumVgprs: 0
; ScratchSize: 0
; MemoryBound: 0
; FloatMode: 240
; IeeeMode: 1
; LDSByteSize: 0 bytes/workgroup (compile time only)
; SGPRBlocks: 0
; VGPRBlocks: 0
; NumSGPRsForWavesPerEU: 1
; NumVGPRsForWavesPerEU: 1
; Occupancy: 16
; WaveLimiterHint : 0
; COMPUTE_PGM_RSRC2:SCRATCH_EN: 0
; COMPUTE_PGM_RSRC2:USER_SGPR: 2
; COMPUTE_PGM_RSRC2:TRAP_HANDLER: 0
; COMPUTE_PGM_RSRC2:TGID_X_EN: 1
; COMPUTE_PGM_RSRC2:TGID_Y_EN: 0
; COMPUTE_PGM_RSRC2:TGID_Z_EN: 0
; COMPUTE_PGM_RSRC2:TIDIG_COMP_CNT: 0
	.section	.text._ZL26rocblas_sger_gfx942_kernelILi256EddPKdPdEviiT1_lT2_lllS4_lllT3_lll,"axG",@progbits,_ZL26rocblas_sger_gfx942_kernelILi256EddPKdPdEviiT1_lT2_lllS4_lllT3_lll,comdat
	.globl	_ZL26rocblas_sger_gfx942_kernelILi256EddPKdPdEviiT1_lT2_lllS4_lllT3_lll ; -- Begin function _ZL26rocblas_sger_gfx942_kernelILi256EddPKdPdEviiT1_lT2_lllS4_lllT3_lll
	.p2align	8
	.type	_ZL26rocblas_sger_gfx942_kernelILi256EddPKdPdEviiT1_lT2_lllS4_lllT3_lll,@function
_ZL26rocblas_sger_gfx942_kernelILi256EddPKdPdEviiT1_lT2_lllS4_lllT3_lll: ; @_ZL26rocblas_sger_gfx942_kernelILi256EddPKdPdEviiT1_lT2_lllS4_lllT3_lll
; %bb.0:
	s_endpgm
	.section	.rodata,"a",@progbits
	.p2align	6, 0x0
	.amdhsa_kernel _ZL26rocblas_sger_gfx942_kernelILi256EddPKdPdEviiT1_lT2_lllS4_lllT3_lll
		.amdhsa_group_segment_fixed_size 0
		.amdhsa_private_segment_fixed_size 0
		.amdhsa_kernarg_size 120
		.amdhsa_user_sgpr_count 2
		.amdhsa_user_sgpr_dispatch_ptr 0
		.amdhsa_user_sgpr_queue_ptr 0
		.amdhsa_user_sgpr_kernarg_segment_ptr 1
		.amdhsa_user_sgpr_dispatch_id 0
		.amdhsa_user_sgpr_private_segment_size 0
		.amdhsa_wavefront_size32 1
		.amdhsa_uses_dynamic_stack 0
		.amdhsa_enable_private_segment 0
		.amdhsa_system_sgpr_workgroup_id_x 1
		.amdhsa_system_sgpr_workgroup_id_y 0
		.amdhsa_system_sgpr_workgroup_id_z 0
		.amdhsa_system_sgpr_workgroup_info 0
		.amdhsa_system_vgpr_workitem_id 0
		.amdhsa_next_free_vgpr 1
		.amdhsa_next_free_sgpr 1
		.amdhsa_reserve_vcc 0
		.amdhsa_float_round_mode_32 0
		.amdhsa_float_round_mode_16_64 0
		.amdhsa_float_denorm_mode_32 3
		.amdhsa_float_denorm_mode_16_64 3
		.amdhsa_fp16_overflow 0
		.amdhsa_workgroup_processor_mode 1
		.amdhsa_memory_ordered 1
		.amdhsa_forward_progress 1
		.amdhsa_inst_pref_size 1
		.amdhsa_round_robin_scheduling 0
		.amdhsa_exception_fp_ieee_invalid_op 0
		.amdhsa_exception_fp_denorm_src 0
		.amdhsa_exception_fp_ieee_div_zero 0
		.amdhsa_exception_fp_ieee_overflow 0
		.amdhsa_exception_fp_ieee_underflow 0
		.amdhsa_exception_fp_ieee_inexact 0
		.amdhsa_exception_int_div_zero 0
	.end_amdhsa_kernel
	.section	.text._ZL26rocblas_sger_gfx942_kernelILi256EddPKdPdEviiT1_lT2_lllS4_lllT3_lll,"axG",@progbits,_ZL26rocblas_sger_gfx942_kernelILi256EddPKdPdEviiT1_lT2_lllS4_lllT3_lll,comdat
.Lfunc_end9:
	.size	_ZL26rocblas_sger_gfx942_kernelILi256EddPKdPdEviiT1_lT2_lllS4_lllT3_lll, .Lfunc_end9-_ZL26rocblas_sger_gfx942_kernelILi256EddPKdPdEviiT1_lT2_lllS4_lllT3_lll
                                        ; -- End function
	.set _ZL26rocblas_sger_gfx942_kernelILi256EddPKdPdEviiT1_lT2_lllS4_lllT3_lll.num_vgpr, 0
	.set _ZL26rocblas_sger_gfx942_kernelILi256EddPKdPdEviiT1_lT2_lllS4_lllT3_lll.num_agpr, 0
	.set _ZL26rocblas_sger_gfx942_kernelILi256EddPKdPdEviiT1_lT2_lllS4_lllT3_lll.numbered_sgpr, 0
	.set _ZL26rocblas_sger_gfx942_kernelILi256EddPKdPdEviiT1_lT2_lllS4_lllT3_lll.num_named_barrier, 0
	.set _ZL26rocblas_sger_gfx942_kernelILi256EddPKdPdEviiT1_lT2_lllS4_lllT3_lll.private_seg_size, 0
	.set _ZL26rocblas_sger_gfx942_kernelILi256EddPKdPdEviiT1_lT2_lllS4_lllT3_lll.uses_vcc, 0
	.set _ZL26rocblas_sger_gfx942_kernelILi256EddPKdPdEviiT1_lT2_lllS4_lllT3_lll.uses_flat_scratch, 0
	.set _ZL26rocblas_sger_gfx942_kernelILi256EddPKdPdEviiT1_lT2_lllS4_lllT3_lll.has_dyn_sized_stack, 0
	.set _ZL26rocblas_sger_gfx942_kernelILi256EddPKdPdEviiT1_lT2_lllS4_lllT3_lll.has_recursion, 0
	.set _ZL26rocblas_sger_gfx942_kernelILi256EddPKdPdEviiT1_lT2_lllS4_lllT3_lll.has_indirect_call, 0
	.section	.AMDGPU.csdata,"",@progbits
; Kernel info:
; codeLenInByte = 4
; TotalNumSgprs: 0
; NumVgprs: 0
; ScratchSize: 0
; MemoryBound: 0
; FloatMode: 240
; IeeeMode: 1
; LDSByteSize: 0 bytes/workgroup (compile time only)
; SGPRBlocks: 0
; VGPRBlocks: 0
; NumSGPRsForWavesPerEU: 1
; NumVGPRsForWavesPerEU: 1
; Occupancy: 16
; WaveLimiterHint : 0
; COMPUTE_PGM_RSRC2:SCRATCH_EN: 0
; COMPUTE_PGM_RSRC2:USER_SGPR: 2
; COMPUTE_PGM_RSRC2:TRAP_HANDLER: 0
; COMPUTE_PGM_RSRC2:TGID_X_EN: 1
; COMPUTE_PGM_RSRC2:TGID_Y_EN: 0
; COMPUTE_PGM_RSRC2:TGID_Z_EN: 0
; COMPUTE_PGM_RSRC2:TIDIG_COMP_CNT: 0
	.section	.text._ZL19rocblas_sger_kernelILi1024EdPKdS1_PdEviiT1_lT2_lllS4_lllT3_lmli,"axG",@progbits,_ZL19rocblas_sger_kernelILi1024EdPKdS1_PdEviiT1_lT2_lllS4_lllT3_lmli,comdat
	.globl	_ZL19rocblas_sger_kernelILi1024EdPKdS1_PdEviiT1_lT2_lllS4_lllT3_lmli ; -- Begin function _ZL19rocblas_sger_kernelILi1024EdPKdS1_PdEviiT1_lT2_lllS4_lllT3_lmli
	.p2align	8
	.type	_ZL19rocblas_sger_kernelILi1024EdPKdS1_PdEviiT1_lT2_lllS4_lllT3_lmli,@function
_ZL19rocblas_sger_kernelILi1024EdPKdS1_PdEviiT1_lT2_lllS4_lllT3_lmli: ; @_ZL19rocblas_sger_kernelILi1024EdPKdS1_PdEviiT1_lT2_lllS4_lllT3_lmli
; %bb.0:
	s_load_b32 s28, s[0:1], 0x78
	s_lshr_b32 s2, ttmp7, 16
	s_wait_kmcnt 0x0
	s_cmp_ge_u32 s2, s28
	s_cbranch_scc1 .LBB10_8
; %bb.1:
	s_clause 0x6
	s_load_b128 s[24:27], s[0:1], 0x20
	s_load_b256 s[12:19], s[0:1], 0x30
	s_load_b32 s29, s[0:1], 0x0
	s_load_b256 s[4:11], s[0:1], 0x50
	s_load_b64 s[34:35], s[0:1], 0x18
	s_load_b128 s[20:23], s[0:1], 0x8
	s_load_b64 s[36:37], s[0:1], 0x70
	s_mov_b32 s30, ttmp9
	s_ashr_i32 s31, ttmp9, 31
	s_mov_b32 s3, 0
	s_wait_kmcnt 0x0
	v_mad_co_u64_u32 v[1:2], null, s26, v0, 0
	v_cmp_gt_i32_e64 s0, s29, v0
	s_mul_u64 s[10:11], s[10:11], s[30:31]
	s_mul_u64 s[18:19], s[18:19], s[30:31]
	s_lshl_b64 s[30:31], s[8:9], 3
	s_lshl_b64 s[10:11], s[10:11], 3
	;; [unrolled: 1-line block ×3, first 2 shown]
	v_mad_co_u64_u32 v[2:3], null, s27, v0, v[2:3]
	v_cndmask_b32_e64 v3, 0, v0, s0
	s_lshl_b64 s[24:25], s[24:25], 3
	s_add_nc_u64 s[10:11], s[10:11], s[30:31]
	s_add_nc_u64 s[8:9], s[14:15], s[16:17]
	;; [unrolled: 1-line block ×3, first 2 shown]
	v_lshlrev_b32_e32 v3, 3, v3
	s_delay_alu instid0(VALU_DEP_3) | instskip(SKIP_4) | instid1(VALU_DEP_2)
	v_lshlrev_b64_e32 v[1:2], 3, v[1:2]
	s_add_nc_u64 s[6:7], s[6:7], s[10:11]
	s_lshl_b64 s[14:15], s[18:19], 3
	s_lshl_b64 s[10:11], s[26:27], 13
	v_add_co_u32 v3, s1, s6, v3
	v_add_co_u32 v1, vcc_lo, s16, v1
	s_delay_alu instid0(VALU_DEP_1)
	v_add_co_ci_u32_e64 v2, null, s17, v2, vcc_lo
	s_wait_alu 0xf1ff
	v_add_co_ci_u32_e64 v4, null, s7, 0, s1
	s_add_nc_u64 s[8:9], s[8:9], s[14:15]
	s_lshl_b64 s[6:7], s[12:13], 3
	s_lshl_b64 s[12:13], s[36:37], 3
	s_branch .LBB10_4
.LBB10_2:                               ;   in Loop: Header=BB10_4 Depth=1
	s_wait_alu 0xfffe
	s_or_b32 exec_lo, exec_lo, s16
.LBB10_3:                               ;   in Loop: Header=BB10_4 Depth=1
	s_add_co_i32 s2, s2, 0x10000
	s_wait_alu 0xfffe
	s_cmp_lt_u32 s2, s28
	s_cbranch_scc0 .LBB10_8
.LBB10_4:                               ; =>This Loop Header: Depth=1
                                        ;     Child Loop BB10_7 Depth 2
	s_mul_u64 s[14:15], s[22:23], s[2:3]
	s_wait_alu 0xfffe
	s_lshl_b64 s[14:15], s[14:15], 3
	s_wait_alu 0xfffe
	s_add_nc_u64 s[14:15], s[20:21], s[14:15]
	s_load_b64 s[14:15], s[14:15], 0x0
	s_wait_kmcnt 0x0
	v_cmp_eq_f64_e64 s1, s[14:15], 0
	s_and_b32 vcc_lo, exec_lo, s1
	s_wait_alu 0xfffe
	s_cbranch_vccnz .LBB10_3
; %bb.5:                                ;   in Loop: Header=BB10_4 Depth=1
	s_and_saveexec_b32 s16, s0
	s_cbranch_execz .LBB10_2
; %bb.6:                                ;   in Loop: Header=BB10_4 Depth=1
	s_mul_u64 s[18:19], s[4:5], s[2:3]
	v_mad_co_u64_u32 v[7:8], null, s6, s2, v[1:2]
	s_wait_alu 0xfffe
	s_lshl_b64 s[18:19], s[18:19], 3
	v_mad_co_u64_u32 v[9:10], null, s12, s2, v[3:4]
	s_wait_alu 0xfffe
	s_add_nc_u64 s[18:19], s[8:9], s[18:19]
	s_load_b64 s[18:19], s[18:19], 0x0
	s_delay_alu instid0(VALU_DEP_1) | instskip(NEXT) | instid1(VALU_DEP_1)
	v_mad_co_u64_u32 v[11:12], null, s7, s2, v[8:9]
	v_mad_co_u64_u32 v[12:13], null, s13, s2, v[10:11]
	v_dual_mov_b32 v8, v11 :: v_dual_mov_b32 v11, v0
	s_delay_alu instid0(VALU_DEP_2)
	v_mov_b32_e32 v10, v12
	s_wait_kmcnt 0x0
	v_mul_f64_e64 v[5:6], s[14:15], s[18:19]
	s_mov_b32 s14, 0
.LBB10_7:                               ;   Parent Loop BB10_4 Depth=1
                                        ; =>  This Inner Loop Header: Depth=2
	global_load_b64 v[12:13], v[7:8], off
	global_load_b64 v[14:15], v[9:10], off
	v_add_nc_u32_e32 v11, 0x400, v11
	v_add_co_u32 v7, vcc_lo, v7, s10
	s_wait_alu 0xfffd
	v_add_co_ci_u32_e64 v8, null, s11, v8, vcc_lo
	s_delay_alu instid0(VALU_DEP_3)
	v_cmp_le_i32_e32 vcc_lo, s29, v11
	s_wait_alu 0xfffe
	s_or_b32 s14, vcc_lo, s14
	s_wait_loadcnt 0x0
	v_fma_f64 v[12:13], v[5:6], v[12:13], v[14:15]
	global_store_b64 v[9:10], v[12:13], off
	v_add_co_u32 v9, s1, 0x2000, v9
	s_wait_alu 0xf1ff
	v_add_co_ci_u32_e64 v10, null, 0, v10, s1
	s_wait_alu 0xfffe
	s_and_not1_b32 exec_lo, exec_lo, s14
	s_cbranch_execnz .LBB10_7
	s_branch .LBB10_2
.LBB10_8:
	s_endpgm
	.section	.rodata,"a",@progbits
	.p2align	6, 0x0
	.amdhsa_kernel _ZL19rocblas_sger_kernelILi1024EdPKdS1_PdEviiT1_lT2_lllS4_lllT3_lmli
		.amdhsa_group_segment_fixed_size 0
		.amdhsa_private_segment_fixed_size 0
		.amdhsa_kernarg_size 124
		.amdhsa_user_sgpr_count 2
		.amdhsa_user_sgpr_dispatch_ptr 0
		.amdhsa_user_sgpr_queue_ptr 0
		.amdhsa_user_sgpr_kernarg_segment_ptr 1
		.amdhsa_user_sgpr_dispatch_id 0
		.amdhsa_user_sgpr_private_segment_size 0
		.amdhsa_wavefront_size32 1
		.amdhsa_uses_dynamic_stack 0
		.amdhsa_enable_private_segment 0
		.amdhsa_system_sgpr_workgroup_id_x 1
		.amdhsa_system_sgpr_workgroup_id_y 0
		.amdhsa_system_sgpr_workgroup_id_z 1
		.amdhsa_system_sgpr_workgroup_info 0
		.amdhsa_system_vgpr_workitem_id 0
		.amdhsa_next_free_vgpr 16
		.amdhsa_next_free_sgpr 38
		.amdhsa_reserve_vcc 1
		.amdhsa_float_round_mode_32 0
		.amdhsa_float_round_mode_16_64 0
		.amdhsa_float_denorm_mode_32 3
		.amdhsa_float_denorm_mode_16_64 3
		.amdhsa_fp16_overflow 0
		.amdhsa_workgroup_processor_mode 1
		.amdhsa_memory_ordered 1
		.amdhsa_forward_progress 1
		.amdhsa_inst_pref_size 5
		.amdhsa_round_robin_scheduling 0
		.amdhsa_exception_fp_ieee_invalid_op 0
		.amdhsa_exception_fp_denorm_src 0
		.amdhsa_exception_fp_ieee_div_zero 0
		.amdhsa_exception_fp_ieee_overflow 0
		.amdhsa_exception_fp_ieee_underflow 0
		.amdhsa_exception_fp_ieee_inexact 0
		.amdhsa_exception_int_div_zero 0
	.end_amdhsa_kernel
	.section	.text._ZL19rocblas_sger_kernelILi1024EdPKdS1_PdEviiT1_lT2_lllS4_lllT3_lmli,"axG",@progbits,_ZL19rocblas_sger_kernelILi1024EdPKdS1_PdEviiT1_lT2_lllS4_lllT3_lmli,comdat
.Lfunc_end10:
	.size	_ZL19rocblas_sger_kernelILi1024EdPKdS1_PdEviiT1_lT2_lllS4_lllT3_lmli, .Lfunc_end10-_ZL19rocblas_sger_kernelILi1024EdPKdS1_PdEviiT1_lT2_lllS4_lllT3_lmli
                                        ; -- End function
	.set _ZL19rocblas_sger_kernelILi1024EdPKdS1_PdEviiT1_lT2_lllS4_lllT3_lmli.num_vgpr, 16
	.set _ZL19rocblas_sger_kernelILi1024EdPKdS1_PdEviiT1_lT2_lllS4_lllT3_lmli.num_agpr, 0
	.set _ZL19rocblas_sger_kernelILi1024EdPKdS1_PdEviiT1_lT2_lllS4_lllT3_lmli.numbered_sgpr, 38
	.set _ZL19rocblas_sger_kernelILi1024EdPKdS1_PdEviiT1_lT2_lllS4_lllT3_lmli.num_named_barrier, 0
	.set _ZL19rocblas_sger_kernelILi1024EdPKdS1_PdEviiT1_lT2_lllS4_lllT3_lmli.private_seg_size, 0
	.set _ZL19rocblas_sger_kernelILi1024EdPKdS1_PdEviiT1_lT2_lllS4_lllT3_lmli.uses_vcc, 1
	.set _ZL19rocblas_sger_kernelILi1024EdPKdS1_PdEviiT1_lT2_lllS4_lllT3_lmli.uses_flat_scratch, 0
	.set _ZL19rocblas_sger_kernelILi1024EdPKdS1_PdEviiT1_lT2_lllS4_lllT3_lmli.has_dyn_sized_stack, 0
	.set _ZL19rocblas_sger_kernelILi1024EdPKdS1_PdEviiT1_lT2_lllS4_lllT3_lmli.has_recursion, 0
	.set _ZL19rocblas_sger_kernelILi1024EdPKdS1_PdEviiT1_lT2_lllS4_lllT3_lmli.has_indirect_call, 0
	.section	.AMDGPU.csdata,"",@progbits
; Kernel info:
; codeLenInByte = 568
; TotalNumSgprs: 40
; NumVgprs: 16
; ScratchSize: 0
; MemoryBound: 0
; FloatMode: 240
; IeeeMode: 1
; LDSByteSize: 0 bytes/workgroup (compile time only)
; SGPRBlocks: 0
; VGPRBlocks: 1
; NumSGPRsForWavesPerEU: 40
; NumVGPRsForWavesPerEU: 16
; Occupancy: 16
; WaveLimiterHint : 0
; COMPUTE_PGM_RSRC2:SCRATCH_EN: 0
; COMPUTE_PGM_RSRC2:USER_SGPR: 2
; COMPUTE_PGM_RSRC2:TRAP_HANDLER: 0
; COMPUTE_PGM_RSRC2:TGID_X_EN: 1
; COMPUTE_PGM_RSRC2:TGID_Y_EN: 0
; COMPUTE_PGM_RSRC2:TGID_Z_EN: 1
; COMPUTE_PGM_RSRC2:TIDIG_COMP_CNT: 0
	.section	.text._ZL19rocblas_sger_kernelILi1024EddPKdPdEviiT1_lT2_lllS4_lllT3_lmli,"axG",@progbits,_ZL19rocblas_sger_kernelILi1024EddPKdPdEviiT1_lT2_lllS4_lllT3_lmli,comdat
	.globl	_ZL19rocblas_sger_kernelILi1024EddPKdPdEviiT1_lT2_lllS4_lllT3_lmli ; -- Begin function _ZL19rocblas_sger_kernelILi1024EddPKdPdEviiT1_lT2_lllS4_lllT3_lmli
	.p2align	8
	.type	_ZL19rocblas_sger_kernelILi1024EddPKdPdEviiT1_lT2_lllS4_lllT3_lmli,@function
_ZL19rocblas_sger_kernelILi1024EddPKdPdEviiT1_lT2_lllS4_lllT3_lmli: ; @_ZL19rocblas_sger_kernelILi1024EddPKdPdEviiT1_lT2_lllS4_lllT3_lmli
; %bb.0:
	s_load_b32 s26, s[0:1], 0x78
	s_lshr_b32 s2, ttmp7, 16
	s_wait_kmcnt 0x0
	s_cmp_ge_u32 s2, s26
	s_cbranch_scc1 .LBB11_8
; %bb.1:
	s_clause 0x6
	s_load_b128 s[20:23], s[0:1], 0x20
	s_load_b256 s[12:19], s[0:1], 0x30
	s_load_b32 s27, s[0:1], 0x0
	s_load_b256 s[4:11], s[0:1], 0x50
	s_load_b64 s[30:31], s[0:1], 0x18
	s_load_b64 s[24:25], s[0:1], 0x8
	s_load_b64 s[34:35], s[0:1], 0x70
	s_mov_b32 s28, ttmp9
	s_ashr_i32 s29, ttmp9, 31
	s_mov_b32 s3, 0
	s_wait_kmcnt 0x0
	v_mad_co_u64_u32 v[1:2], null, s22, v0, 0
	s_lshl_b64 s[16:17], s[16:17], 3
	s_mul_u64 s[18:19], s[18:19], s[28:29]
	s_mul_u64 s[10:11], s[10:11], s[28:29]
	s_lshl_b64 s[8:9], s[8:9], 3
	s_add_nc_u64 s[14:15], s[14:15], s[16:17]
	s_lshl_b64 s[16:17], s[18:19], 3
	s_lshl_b64 s[10:11], s[10:11], 3
	v_cmp_gt_i32_e64 s0, s27, v0
	s_add_nc_u64 s[10:11], s[10:11], s[8:9]
	s_add_nc_u64 s[8:9], s[14:15], s[16:17]
	v_cmp_neq_f64_e64 s14, s[24:25], 0
	v_mad_co_u64_u32 v[2:3], null, s23, v0, v[2:3]
	v_cndmask_b32_e64 v4, 0, v0, s0
	s_lshl_b64 s[20:21], s[20:21], 3
	s_add_nc_u64 s[6:7], s[6:7], s[10:11]
	s_add_nc_u64 s[18:19], s[30:31], s[20:21]
	s_lshl_b64 s[10:11], s[22:23], 13
	v_lshlrev_b32_e32 v5, 3, v4
	s_delay_alu instid0(VALU_DEP_3) | instskip(NEXT) | instid1(VALU_DEP_2)
	v_lshlrev_b64_e32 v[3:4], 3, v[1:2]
	v_add_co_u32 v1, s1, s6, v5
	s_delay_alu instid0(VALU_DEP_2) | instskip(SKIP_2) | instid1(VALU_DEP_4)
	v_add_co_u32 v3, vcc_lo, s18, v3
	s_wait_alu 0xf1ff
	v_add_co_ci_u32_e64 v2, null, s7, 0, s1
	v_add_co_ci_u32_e64 v4, null, s19, v4, vcc_lo
	s_lshl_b64 s[6:7], s[12:13], 3
	s_lshl_b64 s[12:13], s[34:35], 3
	s_branch .LBB11_4
.LBB11_2:                               ;   in Loop: Header=BB11_4 Depth=1
	s_or_b32 exec_lo, exec_lo, s15
.LBB11_3:                               ;   in Loop: Header=BB11_4 Depth=1
	s_add_co_i32 s2, s2, 0x10000
	s_wait_alu 0xfffe
	s_cmp_lt_u32 s2, s26
	s_cbranch_scc0 .LBB11_8
.LBB11_4:                               ; =>This Loop Header: Depth=1
                                        ;     Child Loop BB11_7 Depth 2
	s_and_not1_b32 vcc_lo, exec_lo, s14
	s_wait_alu 0xfffe
	s_cbranch_vccnz .LBB11_3
; %bb.5:                                ;   in Loop: Header=BB11_4 Depth=1
	s_and_saveexec_b32 s15, s0
	s_cbranch_execz .LBB11_2
; %bb.6:                                ;   in Loop: Header=BB11_4 Depth=1
	s_mul_u64 s[16:17], s[4:5], s[2:3]
	v_mad_co_u64_u32 v[7:8], null, s6, s2, v[3:4]
	s_wait_alu 0xfffe
	s_lshl_b64 s[16:17], s[16:17], 3
	v_mad_co_u64_u32 v[9:10], null, s12, s2, v[1:2]
	s_wait_alu 0xfffe
	s_add_nc_u64 s[16:17], s[8:9], s[16:17]
	s_load_b64 s[16:17], s[16:17], 0x0
	s_delay_alu instid0(VALU_DEP_1) | instskip(NEXT) | instid1(VALU_DEP_1)
	v_mad_co_u64_u32 v[11:12], null, s7, s2, v[8:9]
	v_mad_co_u64_u32 v[12:13], null, s13, s2, v[10:11]
	v_dual_mov_b32 v8, v11 :: v_dual_mov_b32 v11, v0
	s_delay_alu instid0(VALU_DEP_2)
	v_mov_b32_e32 v10, v12
	s_wait_kmcnt 0x0
	v_mul_f64_e64 v[5:6], s[24:25], s[16:17]
	s_mov_b32 s16, 0
.LBB11_7:                               ;   Parent Loop BB11_4 Depth=1
                                        ; =>  This Inner Loop Header: Depth=2
	global_load_b64 v[12:13], v[7:8], off
	global_load_b64 v[14:15], v[9:10], off
	v_add_nc_u32_e32 v11, 0x400, v11
	v_add_co_u32 v7, vcc_lo, v7, s10
	s_wait_alu 0xfffd
	v_add_co_ci_u32_e64 v8, null, s11, v8, vcc_lo
	s_delay_alu instid0(VALU_DEP_3)
	v_cmp_le_i32_e32 vcc_lo, s27, v11
	s_wait_alu 0xfffe
	s_or_b32 s16, vcc_lo, s16
	s_wait_loadcnt 0x0
	v_fma_f64 v[12:13], v[5:6], v[12:13], v[14:15]
	global_store_b64 v[9:10], v[12:13], off
	v_add_co_u32 v9, s1, 0x2000, v9
	s_wait_alu 0xf1ff
	v_add_co_ci_u32_e64 v10, null, 0, v10, s1
	s_wait_alu 0xfffe
	s_and_not1_b32 exec_lo, exec_lo, s16
	s_cbranch_execnz .LBB11_7
	s_branch .LBB11_2
.LBB11_8:
	s_endpgm
	.section	.rodata,"a",@progbits
	.p2align	6, 0x0
	.amdhsa_kernel _ZL19rocblas_sger_kernelILi1024EddPKdPdEviiT1_lT2_lllS4_lllT3_lmli
		.amdhsa_group_segment_fixed_size 0
		.amdhsa_private_segment_fixed_size 0
		.amdhsa_kernarg_size 124
		.amdhsa_user_sgpr_count 2
		.amdhsa_user_sgpr_dispatch_ptr 0
		.amdhsa_user_sgpr_queue_ptr 0
		.amdhsa_user_sgpr_kernarg_segment_ptr 1
		.amdhsa_user_sgpr_dispatch_id 0
		.amdhsa_user_sgpr_private_segment_size 0
		.amdhsa_wavefront_size32 1
		.amdhsa_uses_dynamic_stack 0
		.amdhsa_enable_private_segment 0
		.amdhsa_system_sgpr_workgroup_id_x 1
		.amdhsa_system_sgpr_workgroup_id_y 0
		.amdhsa_system_sgpr_workgroup_id_z 1
		.amdhsa_system_sgpr_workgroup_info 0
		.amdhsa_system_vgpr_workitem_id 0
		.amdhsa_next_free_vgpr 16
		.amdhsa_next_free_sgpr 36
		.amdhsa_reserve_vcc 1
		.amdhsa_float_round_mode_32 0
		.amdhsa_float_round_mode_16_64 0
		.amdhsa_float_denorm_mode_32 3
		.amdhsa_float_denorm_mode_16_64 3
		.amdhsa_fp16_overflow 0
		.amdhsa_workgroup_processor_mode 1
		.amdhsa_memory_ordered 1
		.amdhsa_forward_progress 1
		.amdhsa_inst_pref_size 5
		.amdhsa_round_robin_scheduling 0
		.amdhsa_exception_fp_ieee_invalid_op 0
		.amdhsa_exception_fp_denorm_src 0
		.amdhsa_exception_fp_ieee_div_zero 0
		.amdhsa_exception_fp_ieee_overflow 0
		.amdhsa_exception_fp_ieee_underflow 0
		.amdhsa_exception_fp_ieee_inexact 0
		.amdhsa_exception_int_div_zero 0
	.end_amdhsa_kernel
	.section	.text._ZL19rocblas_sger_kernelILi1024EddPKdPdEviiT1_lT2_lllS4_lllT3_lmli,"axG",@progbits,_ZL19rocblas_sger_kernelILi1024EddPKdPdEviiT1_lT2_lllS4_lllT3_lmli,comdat
.Lfunc_end11:
	.size	_ZL19rocblas_sger_kernelILi1024EddPKdPdEviiT1_lT2_lllS4_lllT3_lmli, .Lfunc_end11-_ZL19rocblas_sger_kernelILi1024EddPKdPdEviiT1_lT2_lllS4_lllT3_lmli
                                        ; -- End function
	.set _ZL19rocblas_sger_kernelILi1024EddPKdPdEviiT1_lT2_lllS4_lllT3_lmli.num_vgpr, 16
	.set _ZL19rocblas_sger_kernelILi1024EddPKdPdEviiT1_lT2_lllS4_lllT3_lmli.num_agpr, 0
	.set _ZL19rocblas_sger_kernelILi1024EddPKdPdEviiT1_lT2_lllS4_lllT3_lmli.numbered_sgpr, 36
	.set _ZL19rocblas_sger_kernelILi1024EddPKdPdEviiT1_lT2_lllS4_lllT3_lmli.num_named_barrier, 0
	.set _ZL19rocblas_sger_kernelILi1024EddPKdPdEviiT1_lT2_lllS4_lllT3_lmli.private_seg_size, 0
	.set _ZL19rocblas_sger_kernelILi1024EddPKdPdEviiT1_lT2_lllS4_lllT3_lmli.uses_vcc, 1
	.set _ZL19rocblas_sger_kernelILi1024EddPKdPdEviiT1_lT2_lllS4_lllT3_lmli.uses_flat_scratch, 0
	.set _ZL19rocblas_sger_kernelILi1024EddPKdPdEviiT1_lT2_lllS4_lllT3_lmli.has_dyn_sized_stack, 0
	.set _ZL19rocblas_sger_kernelILi1024EddPKdPdEviiT1_lT2_lllS4_lllT3_lmli.has_recursion, 0
	.set _ZL19rocblas_sger_kernelILi1024EddPKdPdEviiT1_lT2_lllS4_lllT3_lmli.has_indirect_call, 0
	.section	.AMDGPU.csdata,"",@progbits
; Kernel info:
; codeLenInByte = 532
; TotalNumSgprs: 38
; NumVgprs: 16
; ScratchSize: 0
; MemoryBound: 0
; FloatMode: 240
; IeeeMode: 1
; LDSByteSize: 0 bytes/workgroup (compile time only)
; SGPRBlocks: 0
; VGPRBlocks: 1
; NumSGPRsForWavesPerEU: 38
; NumVGPRsForWavesPerEU: 16
; Occupancy: 16
; WaveLimiterHint : 0
; COMPUTE_PGM_RSRC2:SCRATCH_EN: 0
; COMPUTE_PGM_RSRC2:USER_SGPR: 2
; COMPUTE_PGM_RSRC2:TRAP_HANDLER: 0
; COMPUTE_PGM_RSRC2:TGID_X_EN: 1
; COMPUTE_PGM_RSRC2:TGID_Y_EN: 0
; COMPUTE_PGM_RSRC2:TGID_Z_EN: 1
; COMPUTE_PGM_RSRC2:TIDIG_COMP_CNT: 0
	.section	.text._ZL18rocblas_ger_kernelILi32ELi32ELi2ELb0EdPKdS1_PdEviiT4_lT5_lllS4_lllT6_lmli,"axG",@progbits,_ZL18rocblas_ger_kernelILi32ELi32ELi2ELb0EdPKdS1_PdEviiT4_lT5_lllS4_lllT6_lmli,comdat
	.globl	_ZL18rocblas_ger_kernelILi32ELi32ELi2ELb0EdPKdS1_PdEviiT4_lT5_lllS4_lllT6_lmli ; -- Begin function _ZL18rocblas_ger_kernelILi32ELi32ELi2ELb0EdPKdS1_PdEviiT4_lT5_lllS4_lllT6_lmli
	.p2align	8
	.type	_ZL18rocblas_ger_kernelILi32ELi32ELi2ELb0EdPKdS1_PdEviiT4_lT5_lllS4_lllT6_lmli,@function
_ZL18rocblas_ger_kernelILi32ELi32ELi2ELb0EdPKdS1_PdEviiT4_lT5_lllS4_lllT6_lmli: ; @_ZL18rocblas_ger_kernelILi32ELi32ELi2ELb0EdPKdS1_PdEviiT4_lT5_lllS4_lllT6_lmli
; %bb.0:
	s_load_b32 s33, s[0:1], 0x78
	s_lshr_b32 s28, ttmp7, 16
	s_wait_kmcnt 0x0
	s_cmp_ge_u32 s28, s33
	s_cbranch_scc1 .LBB12_18
; %bb.1:
	s_clause 0x3
	s_load_b64 s[34:35], s[0:1], 0x0
	s_load_b128 s[24:27], s[0:1], 0x8
	s_load_b256 s[8:15], s[0:1], 0x50
	s_load_b256 s[16:23], s[0:1], 0x30
	v_and_b32_e32 v2, 0x3ff, v0
	s_wait_kmcnt 0x0
	s_add_co_i32 s2, s34, -1
	s_delay_alu instid0(SALU_CYCLE_1) | instskip(NEXT) | instid1(SALU_CYCLE_1)
	s_ashr_i32 s3, s2, 31
	s_lshr_b32 s3, s3, 27
	s_delay_alu instid0(SALU_CYCLE_1) | instskip(NEXT) | instid1(SALU_CYCLE_1)
	s_add_co_i32 s2, s2, s3
	s_ashr_i32 s29, s2, 5
	s_delay_alu instid0(SALU_CYCLE_1) | instskip(NEXT) | instid1(SALU_CYCLE_1)
	s_add_co_i32 s36, s29, 1
	s_cvt_f32_u32 s2, s36
	s_delay_alu instid0(SALU_CYCLE_3) | instskip(NEXT) | instid1(TRANS32_DEP_1)
	v_rcp_iflag_f32_e32 v1, s2
	v_readfirstlane_b32 s2, v1
	v_bfe_u32 v1, v0, 10, 10
	s_mul_f32 s30, s2, 0x4f7ffffe
	s_clause 0x1
	s_load_b64 s[2:3], s[0:1], 0x18
	s_load_b128 s[4:7], s[0:1], 0x20
	v_lshlrev_b32_e32 v0, 1, v1
	v_lshlrev_b32_e32 v8, 4, v1
	s_cvt_u32_f32 s37, s30
	s_load_b64 s[30:31], s[0:1], 0x70
	s_not_b32 s0, s29
	s_delay_alu instid0(SALU_CYCLE_1) | instskip(NEXT) | instid1(SALU_CYCLE_1)
	s_mul_i32 s0, s0, s37
	s_mul_hi_u32 s1, s37, s0
	v_cmp_eq_u32_e64 s0, 0, v1
	s_add_co_i32 s37, s37, s1
	s_delay_alu instid0(SALU_CYCLE_1) | instskip(NEXT) | instid1(SALU_CYCLE_1)
	s_mul_hi_u32 s29, ttmp9, s37
	s_mul_i32 s37, s29, s36
	s_add_co_i32 s38, s29, 1
	s_sub_co_i32 s37, ttmp9, s37
	s_delay_alu instid0(SALU_CYCLE_1)
	s_sub_co_i32 s39, s37, s36
	s_cmp_ge_u32 s37, s36
	s_cselect_b32 s29, s38, s29
	s_cselect_b32 s37, s39, s37
	s_add_co_i32 s38, s29, 1
	s_cmp_ge_u32 s37, s36
	s_cselect_b32 s29, s38, s29
	s_lshl_b64 s[12:13], s[12:13], 3
	v_lshl_add_u32 v1, s29, 6, v0
	s_lshl_b64 s[20:21], s[20:21], 3
	s_mul_i32 s29, s29, s36
	s_add_nc_u64 s[10:11], s[10:11], s[12:13]
	s_add_nc_u64 s[12:13], s[18:19], s[20:21]
	s_wait_alu 0xfffe
	s_sub_co_i32 s20, ttmp9, s29
	v_or_b32_e32 v15, v1, v2
	v_lshl_add_u32 v0, s20, 5, v2
	v_ashrrev_i32_e32 v11, 31, v1
	s_wait_kmcnt 0x0
	s_lshl_b64 s[4:5], s[4:5], 3
	v_mul_lo_u32 v16, s15, v1
	v_mad_co_u64_u32 v[4:5], null, s22, v15, 0
	v_mad_co_u64_u32 v[6:7], null, s6, v0, 0
	v_mul_lo_u32 v19, s14, v11
	s_add_nc_u64 s[18:19], s[2:3], s[4:5]
	v_cmp_gt_i32_e64 s2, s35, v1
	v_or_b32_e32 v17, 1, v1
	v_mul_lo_u32 v18, s7, v0
	v_cmp_gt_i32_e64 s3, s34, v0
	v_mad_co_u64_u32 v[11:12], null, s23, v15, v[5:6]
	s_delay_alu instid0(VALU_DEP_4)
	v_mul_lo_u32 v21, s15, v17
	v_mad_co_u64_u32 v[13:14], null, s14, v17, 0
	v_cmp_gt_u32_e64 s4, s35, v15
	v_cmp_gt_i32_e64 s5, s35, v17
	v_mov_b32_e32 v17, 0
	v_mov_b32_e32 v5, v11
	v_lshlrev_b32_e32 v3, 3, v2
	v_cmp_gt_u32_e64 s1, 2, v2
	v_add3_u32 v14, v14, v19, v21
	s_mov_b32 s29, 0
	v_lshlrev_b64_e32 v[4:5], 3, v[4:5]
	v_add_nc_u32_e32 v9, 0x200, v3
	v_add_nc_u32_e32 v10, v8, v3
	v_mad_co_u64_u32 v[2:3], null, s14, v1, 0
	v_ashrrev_i32_e32 v1, 31, v0
	s_delay_alu instid0(VALU_DEP_1) | instskip(SKIP_1) | instid1(VALU_DEP_4)
	v_mul_lo_u32 v20, s6, v1
	v_lshlrev_b64_e32 v[0:1], 3, v[0:1]
	v_add3_u32 v3, v3, v19, v16
	s_delay_alu instid0(VALU_DEP_2) | instskip(NEXT) | instid1(VALU_DEP_4)
	v_add_co_u32 v11, vcc_lo, s10, v0
	v_add3_u32 v7, v7, v20, v18
	s_delay_alu instid0(VALU_DEP_4) | instskip(NEXT) | instid1(VALU_DEP_4)
	v_add_co_ci_u32_e64 v12, null, s11, v1, vcc_lo
	v_lshlrev_b64_e32 v[0:1], 3, v[2:3]
	v_lshlrev_b64_e32 v[2:3], 3, v[13:14]
	s_delay_alu instid0(VALU_DEP_4) | instskip(NEXT) | instid1(VALU_DEP_1)
	v_lshlrev_b64_e32 v[6:7], 3, v[6:7]
	v_add_co_u32 v13, vcc_lo, s18, v6
	s_wait_alu 0xfffd
	s_delay_alu instid0(VALU_DEP_2)
	v_add_co_ci_u32_e64 v14, null, s19, v7, vcc_lo
	v_add_co_u32 v15, vcc_lo, s12, v4
	s_wait_alu 0xfffd
	v_add_co_ci_u32_e64 v16, null, s13, v5, vcc_lo
	s_branch .LBB12_4
.LBB12_2:                               ;   in Loop: Header=BB12_4 Depth=1
	s_wait_alu 0xfffe
	s_or_b32 exec_lo, exec_lo, s6
.LBB12_3:                               ;   in Loop: Header=BB12_4 Depth=1
	s_add_co_i32 s28, s28, 0x10000
	s_wait_alu 0xfffe
	s_cmp_lt_u32 s28, s33
	s_cbranch_scc0 .LBB12_18
.LBB12_4:                               ; =>This Inner Loop Header: Depth=1
	s_wait_alu 0xfffe
	s_mul_u64 s[6:7], s[26:27], s[28:29]
	s_wait_alu 0xfffe
	s_lshl_b64 s[6:7], s[6:7], 3
	s_wait_alu 0xfffe
	s_add_nc_u64 s[6:7], s[24:25], s[6:7]
	global_load_b64 v[4:5], v17, s[6:7]
	s_wait_loadcnt 0x0
	v_cmp_eq_f64_e32 vcc_lo, 0, v[4:5]
	s_cbranch_vccnz .LBB12_3
; %bb.5:                                ;   in Loop: Header=BB12_4 Depth=1
	s_and_saveexec_b32 s6, s0
	s_cbranch_execz .LBB12_9
; %bb.6:                                ;   in Loop: Header=BB12_4 Depth=1
	v_mov_b32_e32 v6, 0
	v_mov_b32_e32 v7, 0
	s_and_saveexec_b32 s7, s3
	s_cbranch_execz .LBB12_8
; %bb.7:                                ;   in Loop: Header=BB12_4 Depth=1
	s_mul_u64 s[10:11], s[16:17], s[28:29]
	s_wait_alu 0xfffe
	s_lshl_b64 s[10:11], s[10:11], 3
	s_wait_alu 0xfffe
	v_add_co_u32 v6, vcc_lo, v13, s10
	s_wait_alu 0xfffd
	v_add_co_ci_u32_e64 v7, null, s11, v14, vcc_lo
	global_load_b64 v[6:7], v[6:7], off
.LBB12_8:                               ;   in Loop: Header=BB12_4 Depth=1
	s_wait_alu 0xfffe
	s_or_b32 exec_lo, exec_lo, s7
	s_wait_loadcnt 0x0
	ds_store_b64 v9, v[6:7]
.LBB12_9:                               ;   in Loop: Header=BB12_4 Depth=1
	s_wait_alu 0xfffe
	s_or_b32 exec_lo, exec_lo, s6
	s_and_saveexec_b32 s6, s1
	s_cbranch_execz .LBB12_13
; %bb.10:                               ;   in Loop: Header=BB12_4 Depth=1
	v_mov_b32_e32 v6, 0
	v_mov_b32_e32 v7, 0
	s_and_saveexec_b32 s7, s4
	s_cbranch_execz .LBB12_12
; %bb.11:                               ;   in Loop: Header=BB12_4 Depth=1
	s_mul_u64 s[10:11], s[8:9], s[28:29]
	s_wait_alu 0xfffe
	s_lshl_b64 s[10:11], s[10:11], 3
	s_wait_alu 0xfffe
	v_add_co_u32 v6, vcc_lo, v15, s10
	s_wait_alu 0xfffd
	v_add_co_ci_u32_e64 v7, null, s11, v16, vcc_lo
	global_load_b64 v[6:7], v[6:7], off
.LBB12_12:                              ;   in Loop: Header=BB12_4 Depth=1
	s_wait_alu 0xfffe
	s_or_b32 exec_lo, exec_lo, s7
	s_wait_loadcnt 0x0
	ds_store_b64 v10, v[6:7]
.LBB12_13:                              ;   in Loop: Header=BB12_4 Depth=1
	s_wait_alu 0xfffe
	s_or_b32 exec_lo, exec_lo, s6
	s_wait_dscnt 0x0
	s_barrier_signal -1
	s_barrier_wait -1
	global_inv scope:SCOPE_SE
	s_and_saveexec_b32 s6, s3
	s_cbranch_execz .LBB12_2
; %bb.14:                               ;   in Loop: Header=BB12_4 Depth=1
	ds_load_b64 v[6:7], v9
	s_mul_u64 s[10:11], s[30:31], s[28:29]
	s_wait_alu 0xfffe
	s_lshl_b64 s[10:11], s[10:11], 3
	s_wait_dscnt 0x0
	v_mul_f64_e32 v[4:5], v[4:5], v[6:7]
	s_wait_alu 0xfffe
	v_add_co_u32 v6, vcc_lo, v11, s10
	s_wait_alu 0xfffd
	v_add_co_ci_u32_e64 v7, null, s11, v12, vcc_lo
	s_and_saveexec_b32 s7, s2
	s_cbranch_execz .LBB12_16
; %bb.15:                               ;   in Loop: Header=BB12_4 Depth=1
	v_add_co_u32 v18, vcc_lo, v6, v0
	s_wait_alu 0xfffd
	v_add_co_ci_u32_e64 v19, null, v7, v1, vcc_lo
	ds_load_b64 v[22:23], v8
	global_load_b64 v[20:21], v[18:19], off
	s_wait_loadcnt_dscnt 0x0
	v_fma_f64 v[20:21], v[4:5], v[22:23], v[20:21]
	global_store_b64 v[18:19], v[20:21], off
.LBB12_16:                              ;   in Loop: Header=BB12_4 Depth=1
	s_wait_alu 0xfffe
	s_or_b32 exec_lo, exec_lo, s7
	s_delay_alu instid0(SALU_CYCLE_1)
	s_and_b32 exec_lo, exec_lo, s5
	s_cbranch_execz .LBB12_2
; %bb.17:                               ;   in Loop: Header=BB12_4 Depth=1
	v_add_co_u32 v6, vcc_lo, v6, v2
	s_wait_alu 0xfffd
	v_add_co_ci_u32_e64 v7, null, v7, v3, vcc_lo
	ds_load_b64 v[20:21], v8 offset:8
	global_load_b64 v[18:19], v[6:7], off
	s_wait_loadcnt_dscnt 0x0
	v_fma_f64 v[4:5], v[4:5], v[20:21], v[18:19]
	global_store_b64 v[6:7], v[4:5], off
	s_branch .LBB12_2
.LBB12_18:
	s_endpgm
	.section	.rodata,"a",@progbits
	.p2align	6, 0x0
	.amdhsa_kernel _ZL18rocblas_ger_kernelILi32ELi32ELi2ELb0EdPKdS1_PdEviiT4_lT5_lllS4_lllT6_lmli
		.amdhsa_group_segment_fixed_size 768
		.amdhsa_private_segment_fixed_size 0
		.amdhsa_kernarg_size 124
		.amdhsa_user_sgpr_count 2
		.amdhsa_user_sgpr_dispatch_ptr 0
		.amdhsa_user_sgpr_queue_ptr 0
		.amdhsa_user_sgpr_kernarg_segment_ptr 1
		.amdhsa_user_sgpr_dispatch_id 0
		.amdhsa_user_sgpr_private_segment_size 0
		.amdhsa_wavefront_size32 1
		.amdhsa_uses_dynamic_stack 0
		.amdhsa_enable_private_segment 0
		.amdhsa_system_sgpr_workgroup_id_x 1
		.amdhsa_system_sgpr_workgroup_id_y 0
		.amdhsa_system_sgpr_workgroup_id_z 1
		.amdhsa_system_sgpr_workgroup_info 0
		.amdhsa_system_vgpr_workitem_id 1
		.amdhsa_next_free_vgpr 24
		.amdhsa_next_free_sgpr 40
		.amdhsa_reserve_vcc 1
		.amdhsa_float_round_mode_32 0
		.amdhsa_float_round_mode_16_64 0
		.amdhsa_float_denorm_mode_32 3
		.amdhsa_float_denorm_mode_16_64 3
		.amdhsa_fp16_overflow 0
		.amdhsa_workgroup_processor_mode 1
		.amdhsa_memory_ordered 1
		.amdhsa_forward_progress 1
		.amdhsa_inst_pref_size 9
		.amdhsa_round_robin_scheduling 0
		.amdhsa_exception_fp_ieee_invalid_op 0
		.amdhsa_exception_fp_denorm_src 0
		.amdhsa_exception_fp_ieee_div_zero 0
		.amdhsa_exception_fp_ieee_overflow 0
		.amdhsa_exception_fp_ieee_underflow 0
		.amdhsa_exception_fp_ieee_inexact 0
		.amdhsa_exception_int_div_zero 0
	.end_amdhsa_kernel
	.section	.text._ZL18rocblas_ger_kernelILi32ELi32ELi2ELb0EdPKdS1_PdEviiT4_lT5_lllS4_lllT6_lmli,"axG",@progbits,_ZL18rocblas_ger_kernelILi32ELi32ELi2ELb0EdPKdS1_PdEviiT4_lT5_lllS4_lllT6_lmli,comdat
.Lfunc_end12:
	.size	_ZL18rocblas_ger_kernelILi32ELi32ELi2ELb0EdPKdS1_PdEviiT4_lT5_lllS4_lllT6_lmli, .Lfunc_end12-_ZL18rocblas_ger_kernelILi32ELi32ELi2ELb0EdPKdS1_PdEviiT4_lT5_lllS4_lllT6_lmli
                                        ; -- End function
	.set _ZL18rocblas_ger_kernelILi32ELi32ELi2ELb0EdPKdS1_PdEviiT4_lT5_lllS4_lllT6_lmli.num_vgpr, 24
	.set _ZL18rocblas_ger_kernelILi32ELi32ELi2ELb0EdPKdS1_PdEviiT4_lT5_lllS4_lllT6_lmli.num_agpr, 0
	.set _ZL18rocblas_ger_kernelILi32ELi32ELi2ELb0EdPKdS1_PdEviiT4_lT5_lllS4_lllT6_lmli.numbered_sgpr, 40
	.set _ZL18rocblas_ger_kernelILi32ELi32ELi2ELb0EdPKdS1_PdEviiT4_lT5_lllS4_lllT6_lmli.num_named_barrier, 0
	.set _ZL18rocblas_ger_kernelILi32ELi32ELi2ELb0EdPKdS1_PdEviiT4_lT5_lllS4_lllT6_lmli.private_seg_size, 0
	.set _ZL18rocblas_ger_kernelILi32ELi32ELi2ELb0EdPKdS1_PdEviiT4_lT5_lllS4_lllT6_lmli.uses_vcc, 1
	.set _ZL18rocblas_ger_kernelILi32ELi32ELi2ELb0EdPKdS1_PdEviiT4_lT5_lllS4_lllT6_lmli.uses_flat_scratch, 0
	.set _ZL18rocblas_ger_kernelILi32ELi32ELi2ELb0EdPKdS1_PdEviiT4_lT5_lllS4_lllT6_lmli.has_dyn_sized_stack, 0
	.set _ZL18rocblas_ger_kernelILi32ELi32ELi2ELb0EdPKdS1_PdEviiT4_lT5_lllS4_lllT6_lmli.has_recursion, 0
	.set _ZL18rocblas_ger_kernelILi32ELi32ELi2ELb0EdPKdS1_PdEviiT4_lT5_lllS4_lllT6_lmli.has_indirect_call, 0
	.section	.AMDGPU.csdata,"",@progbits
; Kernel info:
; codeLenInByte = 1132
; TotalNumSgprs: 42
; NumVgprs: 24
; ScratchSize: 0
; MemoryBound: 0
; FloatMode: 240
; IeeeMode: 1
; LDSByteSize: 768 bytes/workgroup (compile time only)
; SGPRBlocks: 0
; VGPRBlocks: 2
; NumSGPRsForWavesPerEU: 42
; NumVGPRsForWavesPerEU: 24
; Occupancy: 16
; WaveLimiterHint : 0
; COMPUTE_PGM_RSRC2:SCRATCH_EN: 0
; COMPUTE_PGM_RSRC2:USER_SGPR: 2
; COMPUTE_PGM_RSRC2:TRAP_HANDLER: 0
; COMPUTE_PGM_RSRC2:TGID_X_EN: 1
; COMPUTE_PGM_RSRC2:TGID_Y_EN: 0
; COMPUTE_PGM_RSRC2:TGID_Z_EN: 1
; COMPUTE_PGM_RSRC2:TIDIG_COMP_CNT: 1
	.section	.text._ZL18rocblas_ger_kernelILi32ELi32ELi2ELb0EddPKdPdEviiT4_lT5_lllS4_lllT6_lmli,"axG",@progbits,_ZL18rocblas_ger_kernelILi32ELi32ELi2ELb0EddPKdPdEviiT4_lT5_lllS4_lllT6_lmli,comdat
	.globl	_ZL18rocblas_ger_kernelILi32ELi32ELi2ELb0EddPKdPdEviiT4_lT5_lllS4_lllT6_lmli ; -- Begin function _ZL18rocblas_ger_kernelILi32ELi32ELi2ELb0EddPKdPdEviiT4_lT5_lllS4_lllT6_lmli
	.p2align	8
	.type	_ZL18rocblas_ger_kernelILi32ELi32ELi2ELb0EddPKdPdEviiT4_lT5_lllS4_lllT6_lmli,@function
_ZL18rocblas_ger_kernelILi32ELi32ELi2ELb0EddPKdPdEviiT4_lT5_lllS4_lllT6_lmli: ; @_ZL18rocblas_ger_kernelILi32ELi32ELi2ELb0EddPKdPdEviiT4_lT5_lllS4_lllT6_lmli
; %bb.0:
	s_load_b32 s33, s[0:1], 0x78
	s_lshr_b32 s28, ttmp7, 16
	s_wait_kmcnt 0x0
	s_cmp_ge_u32 s28, s33
	s_cbranch_scc1 .LBB13_18
; %bb.1:
	s_load_b128 s[4:7], s[0:1], 0x0
	v_and_b32_e32 v2, 0x3ff, v0
	s_wait_kmcnt 0x0
	s_add_co_i32 s2, s4, -1
	s_delay_alu instid0(SALU_CYCLE_1) | instskip(NEXT) | instid1(SALU_CYCLE_1)
	s_ashr_i32 s3, s2, 31
	s_lshr_b32 s3, s3, 27
	s_delay_alu instid0(SALU_CYCLE_1) | instskip(NEXT) | instid1(SALU_CYCLE_1)
	s_add_co_i32 s2, s2, s3
	s_ashr_i32 s29, s2, 5
	s_delay_alu instid0(SALU_CYCLE_1) | instskip(NEXT) | instid1(SALU_CYCLE_1)
	s_add_co_i32 s34, s29, 1
	s_cvt_f32_u32 s2, s34
	s_delay_alu instid0(SALU_CYCLE_3) | instskip(SKIP_3) | instid1(TRANS32_DEP_1)
	v_rcp_iflag_f32_e32 v1, s2
	s_clause 0x1
	s_load_b64 s[2:3], s[0:1], 0x18
	s_load_b256 s[8:15], s[0:1], 0x50
	v_readfirstlane_b32 s16, v1
	v_bfe_u32 v1, v0, 10, 10
	s_mul_f32 s30, s16, 0x4f7ffffe
	s_clause 0x1
	s_load_b256 s[16:23], s[0:1], 0x30
	s_load_b128 s[24:27], s[0:1], 0x20
	v_lshlrev_b32_e32 v0, 1, v1
	v_lshlrev_b32_e32 v6, 4, v1
	s_cvt_u32_f32 s35, s30
	s_load_b64 s[30:31], s[0:1], 0x70
	s_not_b32 s0, s29
	s_delay_alu instid0(SALU_CYCLE_1) | instskip(NEXT) | instid1(SALU_CYCLE_1)
	s_mul_i32 s0, s0, s35
	s_mul_hi_u32 s1, s35, s0
	v_cmp_eq_u32_e64 s0, 0, v1
	s_add_co_i32 s35, s35, s1
	s_delay_alu instid0(SALU_CYCLE_1) | instskip(NEXT) | instid1(SALU_CYCLE_1)
	s_mul_hi_u32 s29, ttmp9, s35
	s_mul_i32 s35, s29, s34
	s_add_co_i32 s36, s29, 1
	s_sub_co_i32 s35, ttmp9, s35
	s_delay_alu instid0(SALU_CYCLE_1)
	s_sub_co_i32 s37, s35, s34
	s_cmp_ge_u32 s35, s34
	s_cselect_b32 s29, s36, s29
	s_cselect_b32 s35, s37, s35
	s_add_co_i32 s36, s29, 1
	s_cmp_ge_u32 s35, s34
	s_cselect_b32 s29, s36, s29
	s_wait_kmcnt 0x0
	s_lshl_b64 s[12:13], s[12:13], 3
	v_lshl_add_u32 v1, s29, 6, v0
	s_lshl_b64 s[20:21], s[20:21], 3
	s_mul_i32 s29, s29, s34
	s_add_nc_u64 s[10:11], s[10:11], s[12:13]
	s_add_nc_u64 s[12:13], s[18:19], s[20:21]
	v_or_b32_e32 v15, v1, v2
	s_wait_alu 0xfffe
	s_sub_co_i32 s20, ttmp9, s29
	s_lshl_b64 s[24:25], s[24:25], 3
	v_ashrrev_i32_e32 v11, 31, v1
	s_add_nc_u64 s[18:19], s[2:3], s[24:25]
	v_mad_co_u64_u32 v[4:5], null, s22, v15, 0
	v_cmp_gt_i32_e64 s2, s5, v1
	v_mul_lo_u32 v16, s15, v1
	v_or_b32_e32 v17, 1, v1
	v_mul_lo_u32 v19, s14, v11
	s_mov_b32 s29, 0
	v_mad_co_u64_u32 v[13:14], null, s23, v15, v[5:6]
	s_delay_alu instid0(VALU_DEP_3) | instskip(SKIP_1) | instid1(VALU_DEP_3)
	v_mul_lo_u32 v21, s15, v17
	v_mad_co_u64_u32 v[11:12], null, s14, v17, 0
	v_mov_b32_e32 v5, v13
	v_lshlrev_b32_e32 v3, 3, v2
	v_lshl_add_u32 v0, s20, 5, v2
	v_cmp_gt_u32_e64 s1, 2, v2
	v_add3_u32 v12, v12, v19, v21
	v_lshlrev_b64_e32 v[4:5], 3, v[4:5]
	v_add_nc_u32_e32 v7, 0x200, v3
	v_add_nc_u32_e32 v8, v6, v3
	v_mad_co_u64_u32 v[2:3], null, s14, v1, 0
	v_ashrrev_i32_e32 v1, 31, v0
	v_mul_lo_u32 v18, s27, v0
	v_mad_co_u64_u32 v[9:10], null, s26, v0, 0
	v_cmp_gt_i32_e64 s3, s4, v0
	s_delay_alu instid0(VALU_DEP_4)
	v_mul_lo_u32 v20, s26, v1
	v_lshlrev_b64_e32 v[0:1], 3, v[0:1]
	v_cmp_gt_u32_e64 s4, s5, v15
	v_add3_u32 v3, v3, v19, v16
	v_cmp_gt_i32_e64 s5, s5, v17
	v_add3_u32 v10, v10, v20, v18
	s_delay_alu instid0(VALU_DEP_1)
	v_lshlrev_b64_e32 v[14:15], 3, v[9:10]
	v_add_co_u32 v9, vcc_lo, s10, v0
	v_cmp_neq_f64_e64 s10, s[6:7], 0
	v_add_co_ci_u32_e64 v10, null, s11, v1, vcc_lo
	v_lshlrev_b64_e32 v[0:1], 3, v[2:3]
	v_lshlrev_b64_e32 v[2:3], 3, v[11:12]
	v_add_co_u32 v11, vcc_lo, s18, v14
	s_wait_alu 0xfffd
	v_add_co_ci_u32_e64 v12, null, s19, v15, vcc_lo
	v_add_co_u32 v13, vcc_lo, s12, v4
	s_wait_alu 0xfffd
	v_add_co_ci_u32_e64 v14, null, s13, v5, vcc_lo
	s_branch .LBB13_4
.LBB13_2:                               ;   in Loop: Header=BB13_4 Depth=1
	s_wait_alu 0xfffe
	s_or_b32 exec_lo, exec_lo, s11
.LBB13_3:                               ;   in Loop: Header=BB13_4 Depth=1
	s_add_co_i32 s28, s28, 0x10000
	s_wait_alu 0xfffe
	s_cmp_lt_u32 s28, s33
	s_cbranch_scc0 .LBB13_18
.LBB13_4:                               ; =>This Inner Loop Header: Depth=1
	s_and_not1_b32 vcc_lo, exec_lo, s10
	s_wait_alu 0xfffe
	s_cbranch_vccnz .LBB13_3
; %bb.5:                                ;   in Loop: Header=BB13_4 Depth=1
	s_and_saveexec_b32 s11, s0
	s_cbranch_execz .LBB13_9
; %bb.6:                                ;   in Loop: Header=BB13_4 Depth=1
	v_mov_b32_e32 v4, 0
	v_mov_b32_e32 v5, 0
	s_and_saveexec_b32 s12, s3
	s_cbranch_execz .LBB13_8
; %bb.7:                                ;   in Loop: Header=BB13_4 Depth=1
	s_mul_u64 s[14:15], s[16:17], s[28:29]
	s_wait_alu 0xfffe
	s_lshl_b64 s[14:15], s[14:15], 3
	s_wait_alu 0xfffe
	v_add_co_u32 v4, vcc_lo, v11, s14
	s_wait_alu 0xfffd
	v_add_co_ci_u32_e64 v5, null, s15, v12, vcc_lo
	global_load_b64 v[4:5], v[4:5], off
.LBB13_8:                               ;   in Loop: Header=BB13_4 Depth=1
	s_wait_alu 0xfffe
	s_or_b32 exec_lo, exec_lo, s12
	s_wait_loadcnt 0x0
	ds_store_b64 v7, v[4:5]
.LBB13_9:                               ;   in Loop: Header=BB13_4 Depth=1
	s_wait_alu 0xfffe
	s_or_b32 exec_lo, exec_lo, s11
	s_and_saveexec_b32 s11, s1
	s_cbranch_execz .LBB13_13
; %bb.10:                               ;   in Loop: Header=BB13_4 Depth=1
	v_mov_b32_e32 v4, 0
	v_mov_b32_e32 v5, 0
	s_and_saveexec_b32 s12, s4
	s_cbranch_execz .LBB13_12
; %bb.11:                               ;   in Loop: Header=BB13_4 Depth=1
	s_mul_u64 s[14:15], s[8:9], s[28:29]
	s_wait_alu 0xfffe
	s_lshl_b64 s[14:15], s[14:15], 3
	s_wait_alu 0xfffe
	v_add_co_u32 v4, vcc_lo, v13, s14
	s_wait_alu 0xfffd
	v_add_co_ci_u32_e64 v5, null, s15, v14, vcc_lo
	global_load_b64 v[4:5], v[4:5], off
.LBB13_12:                              ;   in Loop: Header=BB13_4 Depth=1
	s_wait_alu 0xfffe
	s_or_b32 exec_lo, exec_lo, s12
	s_wait_loadcnt 0x0
	ds_store_b64 v8, v[4:5]
.LBB13_13:                              ;   in Loop: Header=BB13_4 Depth=1
	s_wait_alu 0xfffe
	s_or_b32 exec_lo, exec_lo, s11
	s_wait_dscnt 0x0
	s_barrier_signal -1
	s_barrier_wait -1
	global_inv scope:SCOPE_SE
	s_and_saveexec_b32 s11, s3
	s_cbranch_execz .LBB13_2
; %bb.14:                               ;   in Loop: Header=BB13_4 Depth=1
	ds_load_b64 v[4:5], v7
	s_mul_u64 s[12:13], s[30:31], s[28:29]
	s_wait_alu 0xfffe
	s_lshl_b64 s[12:13], s[12:13], 3
	s_wait_alu 0xfffe
	v_add_co_u32 v15, vcc_lo, v9, s12
	s_wait_alu 0xfffd
	v_add_co_ci_u32_e64 v16, null, s13, v10, vcc_lo
	s_wait_dscnt 0x0
	v_mul_f64_e32 v[4:5], s[6:7], v[4:5]
	s_and_saveexec_b32 s12, s2
	s_cbranch_execz .LBB13_16
; %bb.15:                               ;   in Loop: Header=BB13_4 Depth=1
	v_add_co_u32 v17, vcc_lo, v15, v0
	s_wait_alu 0xfffd
	v_add_co_ci_u32_e64 v18, null, v16, v1, vcc_lo
	ds_load_b64 v[21:22], v6
	global_load_b64 v[19:20], v[17:18], off
	s_wait_loadcnt_dscnt 0x0
	v_fma_f64 v[19:20], v[4:5], v[21:22], v[19:20]
	global_store_b64 v[17:18], v[19:20], off
.LBB13_16:                              ;   in Loop: Header=BB13_4 Depth=1
	s_wait_alu 0xfffe
	s_or_b32 exec_lo, exec_lo, s12
	s_delay_alu instid0(SALU_CYCLE_1)
	s_and_b32 exec_lo, exec_lo, s5
	s_cbranch_execz .LBB13_2
; %bb.17:                               ;   in Loop: Header=BB13_4 Depth=1
	v_add_co_u32 v15, vcc_lo, v15, v2
	s_wait_alu 0xfffd
	v_add_co_ci_u32_e64 v16, null, v16, v3, vcc_lo
	ds_load_b64 v[19:20], v6 offset:8
	global_load_b64 v[17:18], v[15:16], off
	s_wait_loadcnt_dscnt 0x0
	v_fma_f64 v[4:5], v[4:5], v[19:20], v[17:18]
	global_store_b64 v[15:16], v[4:5], off
	s_branch .LBB13_2
.LBB13_18:
	s_endpgm
	.section	.rodata,"a",@progbits
	.p2align	6, 0x0
	.amdhsa_kernel _ZL18rocblas_ger_kernelILi32ELi32ELi2ELb0EddPKdPdEviiT4_lT5_lllS4_lllT6_lmli
		.amdhsa_group_segment_fixed_size 768
		.amdhsa_private_segment_fixed_size 0
		.amdhsa_kernarg_size 124
		.amdhsa_user_sgpr_count 2
		.amdhsa_user_sgpr_dispatch_ptr 0
		.amdhsa_user_sgpr_queue_ptr 0
		.amdhsa_user_sgpr_kernarg_segment_ptr 1
		.amdhsa_user_sgpr_dispatch_id 0
		.amdhsa_user_sgpr_private_segment_size 0
		.amdhsa_wavefront_size32 1
		.amdhsa_uses_dynamic_stack 0
		.amdhsa_enable_private_segment 0
		.amdhsa_system_sgpr_workgroup_id_x 1
		.amdhsa_system_sgpr_workgroup_id_y 0
		.amdhsa_system_sgpr_workgroup_id_z 1
		.amdhsa_system_sgpr_workgroup_info 0
		.amdhsa_system_vgpr_workitem_id 1
		.amdhsa_next_free_vgpr 23
		.amdhsa_next_free_sgpr 38
		.amdhsa_reserve_vcc 1
		.amdhsa_float_round_mode_32 0
		.amdhsa_float_round_mode_16_64 0
		.amdhsa_float_denorm_mode_32 3
		.amdhsa_float_denorm_mode_16_64 3
		.amdhsa_fp16_overflow 0
		.amdhsa_workgroup_processor_mode 1
		.amdhsa_memory_ordered 1
		.amdhsa_forward_progress 1
		.amdhsa_inst_pref_size 9
		.amdhsa_round_robin_scheduling 0
		.amdhsa_exception_fp_ieee_invalid_op 0
		.amdhsa_exception_fp_denorm_src 0
		.amdhsa_exception_fp_ieee_div_zero 0
		.amdhsa_exception_fp_ieee_overflow 0
		.amdhsa_exception_fp_ieee_underflow 0
		.amdhsa_exception_fp_ieee_inexact 0
		.amdhsa_exception_int_div_zero 0
	.end_amdhsa_kernel
	.section	.text._ZL18rocblas_ger_kernelILi32ELi32ELi2ELb0EddPKdPdEviiT4_lT5_lllS4_lllT6_lmli,"axG",@progbits,_ZL18rocblas_ger_kernelILi32ELi32ELi2ELb0EddPKdPdEviiT4_lT5_lllS4_lllT6_lmli,comdat
.Lfunc_end13:
	.size	_ZL18rocblas_ger_kernelILi32ELi32ELi2ELb0EddPKdPdEviiT4_lT5_lllS4_lllT6_lmli, .Lfunc_end13-_ZL18rocblas_ger_kernelILi32ELi32ELi2ELb0EddPKdPdEviiT4_lT5_lllS4_lllT6_lmli
                                        ; -- End function
	.set _ZL18rocblas_ger_kernelILi32ELi32ELi2ELb0EddPKdPdEviiT4_lT5_lllS4_lllT6_lmli.num_vgpr, 23
	.set _ZL18rocblas_ger_kernelILi32ELi32ELi2ELb0EddPKdPdEviiT4_lT5_lllS4_lllT6_lmli.num_agpr, 0
	.set _ZL18rocblas_ger_kernelILi32ELi32ELi2ELb0EddPKdPdEviiT4_lT5_lllS4_lllT6_lmli.numbered_sgpr, 38
	.set _ZL18rocblas_ger_kernelILi32ELi32ELi2ELb0EddPKdPdEviiT4_lT5_lllS4_lllT6_lmli.num_named_barrier, 0
	.set _ZL18rocblas_ger_kernelILi32ELi32ELi2ELb0EddPKdPdEviiT4_lT5_lllS4_lllT6_lmli.private_seg_size, 0
	.set _ZL18rocblas_ger_kernelILi32ELi32ELi2ELb0EddPKdPdEviiT4_lT5_lllS4_lllT6_lmli.uses_vcc, 1
	.set _ZL18rocblas_ger_kernelILi32ELi32ELi2ELb0EddPKdPdEviiT4_lT5_lllS4_lllT6_lmli.uses_flat_scratch, 0
	.set _ZL18rocblas_ger_kernelILi32ELi32ELi2ELb0EddPKdPdEviiT4_lT5_lllS4_lllT6_lmli.has_dyn_sized_stack, 0
	.set _ZL18rocblas_ger_kernelILi32ELi32ELi2ELb0EddPKdPdEviiT4_lT5_lllS4_lllT6_lmli.has_recursion, 0
	.set _ZL18rocblas_ger_kernelILi32ELi32ELi2ELb0EddPKdPdEviiT4_lT5_lllS4_lllT6_lmli.has_indirect_call, 0
	.section	.AMDGPU.csdata,"",@progbits
; Kernel info:
; codeLenInByte = 1080
; TotalNumSgprs: 40
; NumVgprs: 23
; ScratchSize: 0
; MemoryBound: 0
; FloatMode: 240
; IeeeMode: 1
; LDSByteSize: 768 bytes/workgroup (compile time only)
; SGPRBlocks: 0
; VGPRBlocks: 2
; NumSGPRsForWavesPerEU: 40
; NumVGPRsForWavesPerEU: 23
; Occupancy: 16
; WaveLimiterHint : 0
; COMPUTE_PGM_RSRC2:SCRATCH_EN: 0
; COMPUTE_PGM_RSRC2:USER_SGPR: 2
; COMPUTE_PGM_RSRC2:TRAP_HANDLER: 0
; COMPUTE_PGM_RSRC2:TGID_X_EN: 1
; COMPUTE_PGM_RSRC2:TGID_Y_EN: 0
; COMPUTE_PGM_RSRC2:TGID_Z_EN: 1
; COMPUTE_PGM_RSRC2:TIDIG_COMP_CNT: 1
	.section	.text._ZL34rocblas_ger_double_buffered_kernelILb0ELi64ELi16ELi2E19rocblas_complex_numIfE24rocblas_internal_val_ptrIS1_EPKS1_PS1_EvbiiT4_lT5_lllS8_lllT6_lmli,"axG",@progbits,_ZL34rocblas_ger_double_buffered_kernelILb0ELi64ELi16ELi2E19rocblas_complex_numIfE24rocblas_internal_val_ptrIS1_EPKS1_PS1_EvbiiT4_lT5_lllS8_lllT6_lmli,comdat
	.globl	_ZL34rocblas_ger_double_buffered_kernelILb0ELi64ELi16ELi2E19rocblas_complex_numIfE24rocblas_internal_val_ptrIS1_EPKS1_PS1_EvbiiT4_lT5_lllS8_lllT6_lmli ; -- Begin function _ZL34rocblas_ger_double_buffered_kernelILb0ELi64ELi16ELi2E19rocblas_complex_numIfE24rocblas_internal_val_ptrIS1_EPKS1_PS1_EvbiiT4_lT5_lllS8_lllT6_lmli
	.p2align	8
	.type	_ZL34rocblas_ger_double_buffered_kernelILb0ELi64ELi16ELi2E19rocblas_complex_numIfE24rocblas_internal_val_ptrIS1_EPKS1_PS1_EvbiiT4_lT5_lllS8_lllT6_lmli,@function
_ZL34rocblas_ger_double_buffered_kernelILb0ELi64ELi16ELi2E19rocblas_complex_numIfE24rocblas_internal_val_ptrIS1_EPKS1_PS1_EvbiiT4_lT5_lllS8_lllT6_lmli: ; @_ZL34rocblas_ger_double_buffered_kernelILb0ELi64ELi16ELi2E19rocblas_complex_numIfE24rocblas_internal_val_ptrIS1_EPKS1_PS1_EvbiiT4_lT5_lllS8_lllT6_lmli
; %bb.0:
	s_load_b32 s30, s[0:1], 0x80
	s_lshr_b32 s2, ttmp7, 16
	s_wait_kmcnt 0x0
	s_cmp_ge_u32 s2, s30
	s_cbranch_scc1 .LBB14_7
; %bb.1:
	v_lshrrev_b32_e32 v1, 4, v0
	s_clause 0x3
	s_load_b32 s31, s[0:1], 0x0
	s_load_b256 s[4:11], s[0:1], 0x58
	s_load_b256 s[12:19], s[0:1], 0x38
	s_load_b128 s[24:27], s[0:1], 0x28
	v_and_b32_e32 v2, 0x3ff, v0
	v_and_b32_e32 v9, 31, v0
	s_clause 0x1
	s_load_b64 s[34:35], s[0:1], 0x20
	s_load_b128 s[20:23], s[0:1], 0x10
	v_and_b32_e32 v1, 0xffc0, v1
	s_load_b64 s[28:29], s[0:1], 0x78
	v_or_b32_e32 v15, 32, v9
	s_mov_b32 s3, 0
	s_delay_alu instid0(VALU_DEP_2) | instskip(NEXT) | instid1(VALU_DEP_1)
	v_add_nc_u32_e32 v1, v1, v2
	v_lshrrev_b32_e32 v10, 4, v1
	s_wait_kmcnt 0x0
	s_bitcmp1_b32 s31, 0
	s_cselect_b32 s31, -1, 0
	s_delay_alu instid0(VALU_DEP_1) | instskip(SKIP_2) | instid1(VALU_DEP_3)
	v_and_b32_e32 v14, 0x1ffe, v10
	v_mad_co_u64_u32 v[2:3], null, s26, v9, 0
	v_mad_co_u64_u32 v[4:5], null, s26, v15, 0
	;; [unrolled: 1-line block ×3, first 2 shown]
	s_lshl_b64 s[0:1], s[8:9], 3
	s_lshl_b64 s[8:9], s[16:17], 3
	;; [unrolled: 1-line block ×3, first 2 shown]
	s_lshl_b32 s24, ttmp9, 6
	s_and_b32 s33, ttmp7, 0xffff
	s_ashr_i32 s25, s24, 31
	v_mad_co_u64_u32 v[6:7], null, s11, v14, v[1:2]
	v_mad_co_u64_u32 v[7:8], null, s27, v9, v[3:4]
	v_or_b32_e32 v8, 1, v10
	s_add_nc_u64 s[0:1], s[6:7], s[0:1]
	s_add_nc_u64 s[8:9], s[14:15], s[8:9]
	;; [unrolled: 1-line block ×3, first 2 shown]
	s_delay_alu instid0(VALU_DEP_3) | instskip(SKIP_1) | instid1(VALU_DEP_4)
	v_mov_b32_e32 v1, v6
	v_mad_co_u64_u32 v[12:13], null, s18, v8, 0
	v_mov_b32_e32 v3, v7
	v_mad_co_u64_u32 v[10:11], null, s18, v14, 0
	v_mad_co_u64_u32 v[5:6], null, s27, v15, v[5:6]
	s_lshl_b32 s14, s33, 6
	v_mov_b32_e32 v7, v13
	s_lshl_b64 s[16:17], s[24:25], 3
	s_mov_b32 s15, s3
	v_mov_b32_e32 v6, v11
	s_add_nc_u64 s[0:1], s[0:1], s[16:17]
	s_mul_u64 s[16:17], s[10:11], s[14:15]
	v_lshlrev_b64_e32 v[0:1], 3, v[0:1]
	s_lshl_b64 s[16:17], s[16:17], 3
	v_mad_co_u64_u32 v[13:14], null, s19, v14, v[6:7]
	v_mad_co_u64_u32 v[6:7], null, s19, v8, v[7:8]
	s_add_nc_u64 s[0:1], s[0:1], s[16:17]
	v_lshlrev_b32_e32 v9, 3, v9
	v_add_co_u32 v0, vcc_lo, s0, v0
	s_xor_b32 s0, s31, -1
	v_add_co_ci_u32_e64 v1, null, s1, v1, vcc_lo
	v_mov_b32_e32 v11, v13
	v_mov_b32_e32 v13, v6
	s_wait_alu 0xfffe
	v_cndmask_b32_e64 v14, 0, 1, s0
	v_add_co_u32 v8, vcc_lo, v0, v9
	s_mul_u64 s[24:25], s[26:27], s[24:25]
	s_mul_u64 s[14:15], s[18:19], s[14:15]
	s_wait_alu 0xfffd
	v_add_co_ci_u32_e64 v9, null, 0, v1, vcc_lo
	v_lshlrev_b64_e32 v[0:1], 3, v[2:3]
	v_lshlrev_b64_e32 v[2:3], 3, v[4:5]
	v_lshlrev_b64_e32 v[4:5], 3, v[10:11]
	v_lshlrev_b64_e32 v[6:7], 3, v[12:13]
	v_cmp_ne_u32_e64 s0, 1, v14
	s_lshl_b64 s[16:17], s[24:25], 3
	s_lshl_b64 s[14:15], s[14:15], 3
	s_add_nc_u64 s[6:7], s[6:7], s[16:17]
	s_add_nc_u64 s[8:9], s[8:9], s[14:15]
	s_lshl_b64 s[10:11], s[10:11], 3
	s_branch .LBB14_3
.LBB14_2:                               ;   in Loop: Header=BB14_3 Depth=1
	s_add_co_i32 s2, s2, 0x10000
	s_delay_alu instid0(SALU_CYCLE_1)
	s_cmp_lt_u32 s2, s30
	s_cbranch_scc0 .LBB14_7
.LBB14_3:                               ; =>This Inner Loop Header: Depth=1
	s_and_b32 vcc_lo, exec_lo, s0
	s_mov_b32 s15, s21
	s_mov_b32 s14, s20
	s_wait_alu 0xfffe
	s_cbranch_vccnz .LBB14_5
; %bb.4:                                ;   in Loop: Header=BB14_3 Depth=1
	s_mul_u64 s[14:15], s[22:23], s[2:3]
	s_wait_alu 0xfffe
	s_lshl_b64 s[14:15], s[14:15], 3
	s_wait_alu 0xfffe
	s_add_nc_u64 s[14:15], s[20:21], s[14:15]
	s_load_b64 s[14:15], s[14:15], 0x0
.LBB14_5:                               ;   in Loop: Header=BB14_3 Depth=1
	s_wait_kmcnt 0x0
	s_cmp_neq_f32 s14, 0
	s_cselect_b32 s1, -1, 0
	s_cmp_neq_f32 s15, 0
	s_cselect_b32 s16, -1, 0
	s_wait_alu 0xfffe
	s_or_b32 s1, s1, s16
	s_wait_alu 0xfffe
	s_and_not1_b32 vcc_lo, exec_lo, s1
	s_wait_alu 0xfffe
	s_cbranch_vccnz .LBB14_2
; %bb.6:                                ;   in Loop: Header=BB14_3 Depth=1
	s_mul_u64 s[16:17], s[12:13], s[2:3]
	s_wait_alu 0xfffe
	s_lshl_b64 s[16:17], s[16:17], 3
	s_wait_alu 0xfffe
	s_add_nc_u64 s[16:17], s[6:7], s[16:17]
	s_wait_alu 0xfffe
	v_add_co_u32 v10, vcc_lo, s16, v0
	s_wait_alu 0xfffd
	v_add_co_ci_u32_e64 v11, null, s17, v1, vcc_lo
	v_add_co_u32 v12, vcc_lo, s16, v2
	s_wait_alu 0xfffd
	v_add_co_ci_u32_e64 v13, null, s17, v3, vcc_lo
	s_mul_u64 s[16:17], s[4:5], s[2:3]
	s_clause 0x1
	global_load_b64 v[10:11], v[10:11], off
	global_load_b64 v[12:13], v[12:13], off
	s_wait_alu 0xfffe
	s_lshl_b64 s[16:17], s[16:17], 3
	s_wait_alu 0xfffe
	s_add_nc_u64 s[16:17], s[8:9], s[16:17]
	s_wait_alu 0xfffe
	v_add_co_u32 v14, vcc_lo, s16, v4
	s_wait_alu 0xfffd
	v_add_co_ci_u32_e64 v15, null, s17, v5, vcc_lo
	v_add_co_u32 v16, vcc_lo, s16, v6
	s_wait_alu 0xfffd
	v_add_co_ci_u32_e64 v17, null, s17, v7, vcc_lo
	s_mul_u64 s[16:17], s[28:29], s[2:3]
	global_load_b64 v[14:15], v[14:15], off
	s_wait_alu 0xfffe
	s_lshl_b64 s[16:17], s[16:17], 3
	global_load_b64 v[16:17], v[16:17], off
	s_wait_alu 0xfffe
	v_add_co_u32 v18, vcc_lo, v8, s16
	s_wait_alu 0xfffd
	v_add_co_ci_u32_e64 v19, null, s17, v9, vcc_lo
	s_delay_alu instid0(VALU_DEP_2) | instskip(SKIP_1) | instid1(VALU_DEP_2)
	v_add_co_u32 v20, vcc_lo, v18, s10
	s_wait_alu 0xfffd
	v_add_co_ci_u32_e64 v21, null, s11, v19, vcc_lo
	s_clause 0x3
	global_load_b64 v[22:23], v[18:19], off
	global_load_b64 v[24:25], v[20:21], off
	global_load_b64 v[26:27], v[20:21], off offset:256
	global_load_b64 v[28:29], v[18:19], off offset:256
	s_wait_loadcnt 0x6
	v_dual_mul_f32 v30, s14, v11 :: v_dual_mul_f32 v31, s15, v13
	s_delay_alu instid0(VALU_DEP_1) | instskip(SKIP_1) | instid1(VALU_DEP_2)
	v_dual_mul_f32 v11, s15, v11 :: v_dual_fmac_f32 v30, s15, v10
	v_mul_f32_e32 v13, s14, v13
	v_fma_f32 v10, s14, v10, -v11
	s_delay_alu instid0(VALU_DEP_4) | instskip(SKIP_1) | instid1(VALU_DEP_3)
	v_fma_f32 v11, s14, v12, -v31
	s_wait_loadcnt 0x5
	v_dual_fmac_f32 v13, s15, v12 :: v_dual_mul_f32 v12, v30, v15
	s_wait_loadcnt 0x4
	v_mul_f32_e32 v32, v30, v17
	s_delay_alu instid0(VALU_DEP_2) | instskip(NEXT) | instid1(VALU_DEP_3)
	v_dual_mul_f32 v33, v10, v17 :: v_dual_mul_f32 v34, v13, v15
	v_fma_f32 v12, v10, v14, -v12
	s_delay_alu instid0(VALU_DEP_3)
	v_fma_f32 v32, v10, v16, -v32
	v_mul_f32_e32 v31, v10, v15
	v_mul_f32_e32 v15, v11, v15
	v_fmac_f32_e32 v33, v30, v16
	s_wait_loadcnt 0x3
	v_add_f32_e32 v10, v22, v12
	s_wait_loadcnt 0x2
	v_dual_add_f32 v12, v24, v32 :: v_dual_fmac_f32 v31, v30, v14
	v_fma_f32 v30, v11, v14, -v34
	v_mul_f32_e32 v35, v13, v17
	v_fmac_f32_e32 v15, v13, v14
	s_wait_loadcnt 0x0
	s_delay_alu instid0(VALU_DEP_3) | instskip(NEXT) | instid1(VALU_DEP_3)
	v_add_f32_e32 v14, v28, v30
	v_fma_f32 v34, v11, v16, -v35
	v_mul_f32_e32 v17, v11, v17
	v_add_f32_e32 v11, v31, v23
	v_add_f32_e32 v15, v15, v29
	s_delay_alu instid0(VALU_DEP_3) | instskip(SKIP_1) | instid1(VALU_DEP_2)
	v_fmac_f32_e32 v17, v13, v16
	v_dual_add_f32 v13, v33, v25 :: v_dual_add_f32 v16, v26, v34
	v_add_f32_e32 v17, v17, v27
	s_clause 0x3
	global_store_b64 v[18:19], v[10:11], off
	global_store_b64 v[20:21], v[12:13], off
	global_store_b64 v[18:19], v[14:15], off offset:256
	global_store_b64 v[20:21], v[16:17], off offset:256
	s_branch .LBB14_2
.LBB14_7:
	s_endpgm
	.section	.rodata,"a",@progbits
	.p2align	6, 0x0
	.amdhsa_kernel _ZL34rocblas_ger_double_buffered_kernelILb0ELi64ELi16ELi2E19rocblas_complex_numIfE24rocblas_internal_val_ptrIS1_EPKS1_PS1_EvbiiT4_lT5_lllS8_lllT6_lmli
		.amdhsa_group_segment_fixed_size 0
		.amdhsa_private_segment_fixed_size 0
		.amdhsa_kernarg_size 132
		.amdhsa_user_sgpr_count 2
		.amdhsa_user_sgpr_dispatch_ptr 0
		.amdhsa_user_sgpr_queue_ptr 0
		.amdhsa_user_sgpr_kernarg_segment_ptr 1
		.amdhsa_user_sgpr_dispatch_id 0
		.amdhsa_user_sgpr_private_segment_size 0
		.amdhsa_wavefront_size32 1
		.amdhsa_uses_dynamic_stack 0
		.amdhsa_enable_private_segment 0
		.amdhsa_system_sgpr_workgroup_id_x 1
		.amdhsa_system_sgpr_workgroup_id_y 1
		.amdhsa_system_sgpr_workgroup_id_z 1
		.amdhsa_system_sgpr_workgroup_info 0
		.amdhsa_system_vgpr_workitem_id 1
		.amdhsa_next_free_vgpr 36
		.amdhsa_next_free_sgpr 36
		.amdhsa_reserve_vcc 1
		.amdhsa_float_round_mode_32 0
		.amdhsa_float_round_mode_16_64 0
		.amdhsa_float_denorm_mode_32 3
		.amdhsa_float_denorm_mode_16_64 3
		.amdhsa_fp16_overflow 0
		.amdhsa_workgroup_processor_mode 1
		.amdhsa_memory_ordered 1
		.amdhsa_forward_progress 1
		.amdhsa_inst_pref_size 9
		.amdhsa_round_robin_scheduling 0
		.amdhsa_exception_fp_ieee_invalid_op 0
		.amdhsa_exception_fp_denorm_src 0
		.amdhsa_exception_fp_ieee_div_zero 0
		.amdhsa_exception_fp_ieee_overflow 0
		.amdhsa_exception_fp_ieee_underflow 0
		.amdhsa_exception_fp_ieee_inexact 0
		.amdhsa_exception_int_div_zero 0
	.end_amdhsa_kernel
	.section	.text._ZL34rocblas_ger_double_buffered_kernelILb0ELi64ELi16ELi2E19rocblas_complex_numIfE24rocblas_internal_val_ptrIS1_EPKS1_PS1_EvbiiT4_lT5_lllS8_lllT6_lmli,"axG",@progbits,_ZL34rocblas_ger_double_buffered_kernelILb0ELi64ELi16ELi2E19rocblas_complex_numIfE24rocblas_internal_val_ptrIS1_EPKS1_PS1_EvbiiT4_lT5_lllS8_lllT6_lmli,comdat
.Lfunc_end14:
	.size	_ZL34rocblas_ger_double_buffered_kernelILb0ELi64ELi16ELi2E19rocblas_complex_numIfE24rocblas_internal_val_ptrIS1_EPKS1_PS1_EvbiiT4_lT5_lllS8_lllT6_lmli, .Lfunc_end14-_ZL34rocblas_ger_double_buffered_kernelILb0ELi64ELi16ELi2E19rocblas_complex_numIfE24rocblas_internal_val_ptrIS1_EPKS1_PS1_EvbiiT4_lT5_lllS8_lllT6_lmli
                                        ; -- End function
	.set _ZL34rocblas_ger_double_buffered_kernelILb0ELi64ELi16ELi2E19rocblas_complex_numIfE24rocblas_internal_val_ptrIS1_EPKS1_PS1_EvbiiT4_lT5_lllS8_lllT6_lmli.num_vgpr, 36
	.set _ZL34rocblas_ger_double_buffered_kernelILb0ELi64ELi16ELi2E19rocblas_complex_numIfE24rocblas_internal_val_ptrIS1_EPKS1_PS1_EvbiiT4_lT5_lllS8_lllT6_lmli.num_agpr, 0
	.set _ZL34rocblas_ger_double_buffered_kernelILb0ELi64ELi16ELi2E19rocblas_complex_numIfE24rocblas_internal_val_ptrIS1_EPKS1_PS1_EvbiiT4_lT5_lllS8_lllT6_lmli.numbered_sgpr, 36
	.set _ZL34rocblas_ger_double_buffered_kernelILb0ELi64ELi16ELi2E19rocblas_complex_numIfE24rocblas_internal_val_ptrIS1_EPKS1_PS1_EvbiiT4_lT5_lllS8_lllT6_lmli.num_named_barrier, 0
	.set _ZL34rocblas_ger_double_buffered_kernelILb0ELi64ELi16ELi2E19rocblas_complex_numIfE24rocblas_internal_val_ptrIS1_EPKS1_PS1_EvbiiT4_lT5_lllS8_lllT6_lmli.private_seg_size, 0
	.set _ZL34rocblas_ger_double_buffered_kernelILb0ELi64ELi16ELi2E19rocblas_complex_numIfE24rocblas_internal_val_ptrIS1_EPKS1_PS1_EvbiiT4_lT5_lllS8_lllT6_lmli.uses_vcc, 1
	.set _ZL34rocblas_ger_double_buffered_kernelILb0ELi64ELi16ELi2E19rocblas_complex_numIfE24rocblas_internal_val_ptrIS1_EPKS1_PS1_EvbiiT4_lT5_lllS8_lllT6_lmli.uses_flat_scratch, 0
	.set _ZL34rocblas_ger_double_buffered_kernelILb0ELi64ELi16ELi2E19rocblas_complex_numIfE24rocblas_internal_val_ptrIS1_EPKS1_PS1_EvbiiT4_lT5_lllS8_lllT6_lmli.has_dyn_sized_stack, 0
	.set _ZL34rocblas_ger_double_buffered_kernelILb0ELi64ELi16ELi2E19rocblas_complex_numIfE24rocblas_internal_val_ptrIS1_EPKS1_PS1_EvbiiT4_lT5_lllS8_lllT6_lmli.has_recursion, 0
	.set _ZL34rocblas_ger_double_buffered_kernelILb0ELi64ELi16ELi2E19rocblas_complex_numIfE24rocblas_internal_val_ptrIS1_EPKS1_PS1_EvbiiT4_lT5_lllS8_lllT6_lmli.has_indirect_call, 0
	.section	.AMDGPU.csdata,"",@progbits
; Kernel info:
; codeLenInByte = 1116
; TotalNumSgprs: 38
; NumVgprs: 36
; ScratchSize: 0
; MemoryBound: 0
; FloatMode: 240
; IeeeMode: 1
; LDSByteSize: 0 bytes/workgroup (compile time only)
; SGPRBlocks: 0
; VGPRBlocks: 4
; NumSGPRsForWavesPerEU: 38
; NumVGPRsForWavesPerEU: 36
; Occupancy: 16
; WaveLimiterHint : 0
; COMPUTE_PGM_RSRC2:SCRATCH_EN: 0
; COMPUTE_PGM_RSRC2:USER_SGPR: 2
; COMPUTE_PGM_RSRC2:TRAP_HANDLER: 0
; COMPUTE_PGM_RSRC2:TGID_X_EN: 1
; COMPUTE_PGM_RSRC2:TGID_Y_EN: 1
; COMPUTE_PGM_RSRC2:TGID_Z_EN: 1
; COMPUTE_PGM_RSRC2:TIDIG_COMP_CNT: 1
	.section	.text._ZL26rocblas_sger_gfx942_kernelILi256E19rocblas_complex_numIfEPKS1_S3_PS1_EviiT1_lT2_lllS6_lllT3_lll,"axG",@progbits,_ZL26rocblas_sger_gfx942_kernelILi256E19rocblas_complex_numIfEPKS1_S3_PS1_EviiT1_lT2_lllS6_lllT3_lll,comdat
	.globl	_ZL26rocblas_sger_gfx942_kernelILi256E19rocblas_complex_numIfEPKS1_S3_PS1_EviiT1_lT2_lllS6_lllT3_lll ; -- Begin function _ZL26rocblas_sger_gfx942_kernelILi256E19rocblas_complex_numIfEPKS1_S3_PS1_EviiT1_lT2_lllS6_lllT3_lll
	.p2align	8
	.type	_ZL26rocblas_sger_gfx942_kernelILi256E19rocblas_complex_numIfEPKS1_S3_PS1_EviiT1_lT2_lllS6_lllT3_lll,@function
_ZL26rocblas_sger_gfx942_kernelILi256E19rocblas_complex_numIfEPKS1_S3_PS1_EviiT1_lT2_lllS6_lllT3_lll: ; @_ZL26rocblas_sger_gfx942_kernelILi256E19rocblas_complex_numIfEPKS1_S3_PS1_EviiT1_lT2_lllS6_lllT3_lll
; %bb.0:
	s_endpgm
	.section	.rodata,"a",@progbits
	.p2align	6, 0x0
	.amdhsa_kernel _ZL26rocblas_sger_gfx942_kernelILi256E19rocblas_complex_numIfEPKS1_S3_PS1_EviiT1_lT2_lllS6_lllT3_lll
		.amdhsa_group_segment_fixed_size 0
		.amdhsa_private_segment_fixed_size 0
		.amdhsa_kernarg_size 120
		.amdhsa_user_sgpr_count 2
		.amdhsa_user_sgpr_dispatch_ptr 0
		.amdhsa_user_sgpr_queue_ptr 0
		.amdhsa_user_sgpr_kernarg_segment_ptr 1
		.amdhsa_user_sgpr_dispatch_id 0
		.amdhsa_user_sgpr_private_segment_size 0
		.amdhsa_wavefront_size32 1
		.amdhsa_uses_dynamic_stack 0
		.amdhsa_enable_private_segment 0
		.amdhsa_system_sgpr_workgroup_id_x 1
		.amdhsa_system_sgpr_workgroup_id_y 0
		.amdhsa_system_sgpr_workgroup_id_z 0
		.amdhsa_system_sgpr_workgroup_info 0
		.amdhsa_system_vgpr_workitem_id 0
		.amdhsa_next_free_vgpr 1
		.amdhsa_next_free_sgpr 1
		.amdhsa_reserve_vcc 0
		.amdhsa_float_round_mode_32 0
		.amdhsa_float_round_mode_16_64 0
		.amdhsa_float_denorm_mode_32 3
		.amdhsa_float_denorm_mode_16_64 3
		.amdhsa_fp16_overflow 0
		.amdhsa_workgroup_processor_mode 1
		.amdhsa_memory_ordered 1
		.amdhsa_forward_progress 1
		.amdhsa_inst_pref_size 1
		.amdhsa_round_robin_scheduling 0
		.amdhsa_exception_fp_ieee_invalid_op 0
		.amdhsa_exception_fp_denorm_src 0
		.amdhsa_exception_fp_ieee_div_zero 0
		.amdhsa_exception_fp_ieee_overflow 0
		.amdhsa_exception_fp_ieee_underflow 0
		.amdhsa_exception_fp_ieee_inexact 0
		.amdhsa_exception_int_div_zero 0
	.end_amdhsa_kernel
	.section	.text._ZL26rocblas_sger_gfx942_kernelILi256E19rocblas_complex_numIfEPKS1_S3_PS1_EviiT1_lT2_lllS6_lllT3_lll,"axG",@progbits,_ZL26rocblas_sger_gfx942_kernelILi256E19rocblas_complex_numIfEPKS1_S3_PS1_EviiT1_lT2_lllS6_lllT3_lll,comdat
.Lfunc_end15:
	.size	_ZL26rocblas_sger_gfx942_kernelILi256E19rocblas_complex_numIfEPKS1_S3_PS1_EviiT1_lT2_lllS6_lllT3_lll, .Lfunc_end15-_ZL26rocblas_sger_gfx942_kernelILi256E19rocblas_complex_numIfEPKS1_S3_PS1_EviiT1_lT2_lllS6_lllT3_lll
                                        ; -- End function
	.set _ZL26rocblas_sger_gfx942_kernelILi256E19rocblas_complex_numIfEPKS1_S3_PS1_EviiT1_lT2_lllS6_lllT3_lll.num_vgpr, 0
	.set _ZL26rocblas_sger_gfx942_kernelILi256E19rocblas_complex_numIfEPKS1_S3_PS1_EviiT1_lT2_lllS6_lllT3_lll.num_agpr, 0
	.set _ZL26rocblas_sger_gfx942_kernelILi256E19rocblas_complex_numIfEPKS1_S3_PS1_EviiT1_lT2_lllS6_lllT3_lll.numbered_sgpr, 0
	.set _ZL26rocblas_sger_gfx942_kernelILi256E19rocblas_complex_numIfEPKS1_S3_PS1_EviiT1_lT2_lllS6_lllT3_lll.num_named_barrier, 0
	.set _ZL26rocblas_sger_gfx942_kernelILi256E19rocblas_complex_numIfEPKS1_S3_PS1_EviiT1_lT2_lllS6_lllT3_lll.private_seg_size, 0
	.set _ZL26rocblas_sger_gfx942_kernelILi256E19rocblas_complex_numIfEPKS1_S3_PS1_EviiT1_lT2_lllS6_lllT3_lll.uses_vcc, 0
	.set _ZL26rocblas_sger_gfx942_kernelILi256E19rocblas_complex_numIfEPKS1_S3_PS1_EviiT1_lT2_lllS6_lllT3_lll.uses_flat_scratch, 0
	.set _ZL26rocblas_sger_gfx942_kernelILi256E19rocblas_complex_numIfEPKS1_S3_PS1_EviiT1_lT2_lllS6_lllT3_lll.has_dyn_sized_stack, 0
	.set _ZL26rocblas_sger_gfx942_kernelILi256E19rocblas_complex_numIfEPKS1_S3_PS1_EviiT1_lT2_lllS6_lllT3_lll.has_recursion, 0
	.set _ZL26rocblas_sger_gfx942_kernelILi256E19rocblas_complex_numIfEPKS1_S3_PS1_EviiT1_lT2_lllS6_lllT3_lll.has_indirect_call, 0
	.section	.AMDGPU.csdata,"",@progbits
; Kernel info:
; codeLenInByte = 4
; TotalNumSgprs: 0
; NumVgprs: 0
; ScratchSize: 0
; MemoryBound: 0
; FloatMode: 240
; IeeeMode: 1
; LDSByteSize: 0 bytes/workgroup (compile time only)
; SGPRBlocks: 0
; VGPRBlocks: 0
; NumSGPRsForWavesPerEU: 1
; NumVGPRsForWavesPerEU: 1
; Occupancy: 16
; WaveLimiterHint : 0
; COMPUTE_PGM_RSRC2:SCRATCH_EN: 0
; COMPUTE_PGM_RSRC2:USER_SGPR: 2
; COMPUTE_PGM_RSRC2:TRAP_HANDLER: 0
; COMPUTE_PGM_RSRC2:TGID_X_EN: 1
; COMPUTE_PGM_RSRC2:TGID_Y_EN: 0
; COMPUTE_PGM_RSRC2:TGID_Z_EN: 0
; COMPUTE_PGM_RSRC2:TIDIG_COMP_CNT: 0
	.section	.text._ZL26rocblas_sger_gfx942_kernelILi256E19rocblas_complex_numIfES1_PKS1_PS1_EviiT1_lT2_lllS6_lllT3_lll,"axG",@progbits,_ZL26rocblas_sger_gfx942_kernelILi256E19rocblas_complex_numIfES1_PKS1_PS1_EviiT1_lT2_lllS6_lllT3_lll,comdat
	.globl	_ZL26rocblas_sger_gfx942_kernelILi256E19rocblas_complex_numIfES1_PKS1_PS1_EviiT1_lT2_lllS6_lllT3_lll ; -- Begin function _ZL26rocblas_sger_gfx942_kernelILi256E19rocblas_complex_numIfES1_PKS1_PS1_EviiT1_lT2_lllS6_lllT3_lll
	.p2align	8
	.type	_ZL26rocblas_sger_gfx942_kernelILi256E19rocblas_complex_numIfES1_PKS1_PS1_EviiT1_lT2_lllS6_lllT3_lll,@function
_ZL26rocblas_sger_gfx942_kernelILi256E19rocblas_complex_numIfES1_PKS1_PS1_EviiT1_lT2_lllS6_lllT3_lll: ; @_ZL26rocblas_sger_gfx942_kernelILi256E19rocblas_complex_numIfES1_PKS1_PS1_EviiT1_lT2_lllS6_lllT3_lll
; %bb.0:
	s_endpgm
	.section	.rodata,"a",@progbits
	.p2align	6, 0x0
	.amdhsa_kernel _ZL26rocblas_sger_gfx942_kernelILi256E19rocblas_complex_numIfES1_PKS1_PS1_EviiT1_lT2_lllS6_lllT3_lll
		.amdhsa_group_segment_fixed_size 0
		.amdhsa_private_segment_fixed_size 0
		.amdhsa_kernarg_size 120
		.amdhsa_user_sgpr_count 2
		.amdhsa_user_sgpr_dispatch_ptr 0
		.amdhsa_user_sgpr_queue_ptr 0
		.amdhsa_user_sgpr_kernarg_segment_ptr 1
		.amdhsa_user_sgpr_dispatch_id 0
		.amdhsa_user_sgpr_private_segment_size 0
		.amdhsa_wavefront_size32 1
		.amdhsa_uses_dynamic_stack 0
		.amdhsa_enable_private_segment 0
		.amdhsa_system_sgpr_workgroup_id_x 1
		.amdhsa_system_sgpr_workgroup_id_y 0
		.amdhsa_system_sgpr_workgroup_id_z 0
		.amdhsa_system_sgpr_workgroup_info 0
		.amdhsa_system_vgpr_workitem_id 0
		.amdhsa_next_free_vgpr 1
		.amdhsa_next_free_sgpr 1
		.amdhsa_reserve_vcc 0
		.amdhsa_float_round_mode_32 0
		.amdhsa_float_round_mode_16_64 0
		.amdhsa_float_denorm_mode_32 3
		.amdhsa_float_denorm_mode_16_64 3
		.amdhsa_fp16_overflow 0
		.amdhsa_workgroup_processor_mode 1
		.amdhsa_memory_ordered 1
		.amdhsa_forward_progress 1
		.amdhsa_inst_pref_size 1
		.amdhsa_round_robin_scheduling 0
		.amdhsa_exception_fp_ieee_invalid_op 0
		.amdhsa_exception_fp_denorm_src 0
		.amdhsa_exception_fp_ieee_div_zero 0
		.amdhsa_exception_fp_ieee_overflow 0
		.amdhsa_exception_fp_ieee_underflow 0
		.amdhsa_exception_fp_ieee_inexact 0
		.amdhsa_exception_int_div_zero 0
	.end_amdhsa_kernel
	.section	.text._ZL26rocblas_sger_gfx942_kernelILi256E19rocblas_complex_numIfES1_PKS1_PS1_EviiT1_lT2_lllS6_lllT3_lll,"axG",@progbits,_ZL26rocblas_sger_gfx942_kernelILi256E19rocblas_complex_numIfES1_PKS1_PS1_EviiT1_lT2_lllS6_lllT3_lll,comdat
.Lfunc_end16:
	.size	_ZL26rocblas_sger_gfx942_kernelILi256E19rocblas_complex_numIfES1_PKS1_PS1_EviiT1_lT2_lllS6_lllT3_lll, .Lfunc_end16-_ZL26rocblas_sger_gfx942_kernelILi256E19rocblas_complex_numIfES1_PKS1_PS1_EviiT1_lT2_lllS6_lllT3_lll
                                        ; -- End function
	.set _ZL26rocblas_sger_gfx942_kernelILi256E19rocblas_complex_numIfES1_PKS1_PS1_EviiT1_lT2_lllS6_lllT3_lll.num_vgpr, 0
	.set _ZL26rocblas_sger_gfx942_kernelILi256E19rocblas_complex_numIfES1_PKS1_PS1_EviiT1_lT2_lllS6_lllT3_lll.num_agpr, 0
	.set _ZL26rocblas_sger_gfx942_kernelILi256E19rocblas_complex_numIfES1_PKS1_PS1_EviiT1_lT2_lllS6_lllT3_lll.numbered_sgpr, 0
	.set _ZL26rocblas_sger_gfx942_kernelILi256E19rocblas_complex_numIfES1_PKS1_PS1_EviiT1_lT2_lllS6_lllT3_lll.num_named_barrier, 0
	.set _ZL26rocblas_sger_gfx942_kernelILi256E19rocblas_complex_numIfES1_PKS1_PS1_EviiT1_lT2_lllS6_lllT3_lll.private_seg_size, 0
	.set _ZL26rocblas_sger_gfx942_kernelILi256E19rocblas_complex_numIfES1_PKS1_PS1_EviiT1_lT2_lllS6_lllT3_lll.uses_vcc, 0
	.set _ZL26rocblas_sger_gfx942_kernelILi256E19rocblas_complex_numIfES1_PKS1_PS1_EviiT1_lT2_lllS6_lllT3_lll.uses_flat_scratch, 0
	.set _ZL26rocblas_sger_gfx942_kernelILi256E19rocblas_complex_numIfES1_PKS1_PS1_EviiT1_lT2_lllS6_lllT3_lll.has_dyn_sized_stack, 0
	.set _ZL26rocblas_sger_gfx942_kernelILi256E19rocblas_complex_numIfES1_PKS1_PS1_EviiT1_lT2_lllS6_lllT3_lll.has_recursion, 0
	.set _ZL26rocblas_sger_gfx942_kernelILi256E19rocblas_complex_numIfES1_PKS1_PS1_EviiT1_lT2_lllS6_lllT3_lll.has_indirect_call, 0
	.section	.AMDGPU.csdata,"",@progbits
; Kernel info:
; codeLenInByte = 4
; TotalNumSgprs: 0
; NumVgprs: 0
; ScratchSize: 0
; MemoryBound: 0
; FloatMode: 240
; IeeeMode: 1
; LDSByteSize: 0 bytes/workgroup (compile time only)
; SGPRBlocks: 0
; VGPRBlocks: 0
; NumSGPRsForWavesPerEU: 1
; NumVGPRsForWavesPerEU: 1
; Occupancy: 16
; WaveLimiterHint : 0
; COMPUTE_PGM_RSRC2:SCRATCH_EN: 0
; COMPUTE_PGM_RSRC2:USER_SGPR: 2
; COMPUTE_PGM_RSRC2:TRAP_HANDLER: 0
; COMPUTE_PGM_RSRC2:TGID_X_EN: 1
; COMPUTE_PGM_RSRC2:TGID_Y_EN: 0
; COMPUTE_PGM_RSRC2:TGID_Z_EN: 0
; COMPUTE_PGM_RSRC2:TIDIG_COMP_CNT: 0
	.section	.text._ZL19rocblas_sger_kernelILi1024E19rocblas_complex_numIfEPKS1_S3_PS1_EviiT1_lT2_lllS6_lllT3_lmli,"axG",@progbits,_ZL19rocblas_sger_kernelILi1024E19rocblas_complex_numIfEPKS1_S3_PS1_EviiT1_lT2_lllS6_lllT3_lmli,comdat
	.globl	_ZL19rocblas_sger_kernelILi1024E19rocblas_complex_numIfEPKS1_S3_PS1_EviiT1_lT2_lllS6_lllT3_lmli ; -- Begin function _ZL19rocblas_sger_kernelILi1024E19rocblas_complex_numIfEPKS1_S3_PS1_EviiT1_lT2_lllS6_lllT3_lmli
	.p2align	8
	.type	_ZL19rocblas_sger_kernelILi1024E19rocblas_complex_numIfEPKS1_S3_PS1_EviiT1_lT2_lllS6_lllT3_lmli,@function
_ZL19rocblas_sger_kernelILi1024E19rocblas_complex_numIfEPKS1_S3_PS1_EviiT1_lT2_lllS6_lllT3_lmli: ; @_ZL19rocblas_sger_kernelILi1024E19rocblas_complex_numIfEPKS1_S3_PS1_EviiT1_lT2_lllS6_lllT3_lmli
; %bb.0:
	s_load_b32 s28, s[0:1], 0x78
	s_lshr_b32 s2, ttmp7, 16
	s_wait_kmcnt 0x0
	s_cmp_ge_u32 s2, s28
	s_cbranch_scc1 .LBB17_8
; %bb.1:
	s_clause 0x6
	s_load_b128 s[24:27], s[0:1], 0x20
	s_load_b256 s[12:19], s[0:1], 0x30
	s_load_b32 s29, s[0:1], 0x0
	s_load_b256 s[4:11], s[0:1], 0x50
	s_load_b64 s[34:35], s[0:1], 0x18
	s_load_b128 s[20:23], s[0:1], 0x8
	s_load_b64 s[36:37], s[0:1], 0x70
	s_mov_b32 s30, ttmp9
	s_ashr_i32 s31, ttmp9, 31
	s_mov_b32 s3, 0
	s_wait_kmcnt 0x0
	v_mad_co_u64_u32 v[1:2], null, s26, v0, 0
	v_cmp_gt_i32_e64 s0, s29, v0
	s_mul_u64 s[10:11], s[10:11], s[30:31]
	s_lshl_b64 s[8:9], s[8:9], 3
	s_lshl_b64 s[10:11], s[10:11], 3
	;; [unrolled: 1-line block ×3, first 2 shown]
	v_cndmask_b32_e64 v4, 0, v0, s0
	v_mad_co_u64_u32 v[2:3], null, s27, v0, v[2:3]
	s_add_nc_u64 s[10:11], s[10:11], s[8:9]
	s_mul_u64 s[18:19], s[18:19], s[30:31]
	v_lshlrev_b32_e32 v3, 3, v4
	s_lshl_b64 s[24:25], s[24:25], 3
	s_add_nc_u64 s[6:7], s[6:7], s[10:11]
	s_add_nc_u64 s[14:15], s[14:15], s[16:17]
	v_lshlrev_b64_e32 v[1:2], 3, v[1:2]
	s_lshl_b64 s[16:17], s[18:19], 3
	s_add_nc_u64 s[18:19], s[34:35], s[24:25]
	v_add_co_u32 v3, s1, s6, v3
	s_wait_alu 0xf1ff
	v_add_co_ci_u32_e64 v4, null, s7, 0, s1
	v_add_co_u32 v5, vcc_lo, s18, v1
	s_delay_alu instid0(VALU_DEP_1)
	v_add_co_ci_u32_e64 v6, null, s19, v2, vcc_lo
	v_add_co_u32 v1, vcc_lo, v3, 4
	s_wait_alu 0xfffd
	v_add_co_ci_u32_e64 v2, null, 0, v4, vcc_lo
	v_add_co_u32 v3, vcc_lo, v5, 4
	s_wait_alu 0xfffd
	v_add_co_ci_u32_e64 v4, null, 0, v6, vcc_lo
	s_add_nc_u64 s[8:9], s[14:15], s[16:17]
	s_lshl_b64 s[6:7], s[36:37], 3
	s_lshl_b64 s[10:11], s[12:13], 3
	;; [unrolled: 1-line block ×3, first 2 shown]
	s_branch .LBB17_4
.LBB17_2:                               ;   in Loop: Header=BB17_4 Depth=1
	s_wait_alu 0xfffe
	s_or_b32 exec_lo, exec_lo, s16
.LBB17_3:                               ;   in Loop: Header=BB17_4 Depth=1
	s_add_co_i32 s2, s2, 0x10000
	s_wait_alu 0xfffe
	s_cmp_lt_u32 s2, s28
	s_cbranch_scc0 .LBB17_8
.LBB17_4:                               ; =>This Loop Header: Depth=1
                                        ;     Child Loop BB17_7 Depth 2
	s_mul_u64 s[14:15], s[22:23], s[2:3]
	s_delay_alu instid0(SALU_CYCLE_1) | instskip(NEXT) | instid1(SALU_CYCLE_1)
	s_lshl_b64 s[14:15], s[14:15], 3
	s_add_nc_u64 s[14:15], s[20:21], s[14:15]
	s_load_b64 s[14:15], s[14:15], 0x0
	s_wait_kmcnt 0x0
	s_cmp_neq_f32 s14, 0
	s_cselect_b32 s1, -1, 0
	s_cmp_neq_f32 s15, 0
	s_cselect_b32 s16, -1, 0
	s_wait_alu 0xfffe
	s_or_b32 s1, s1, s16
	s_wait_alu 0xfffe
	s_and_not1_b32 vcc_lo, exec_lo, s1
	s_wait_alu 0xfffe
	s_cbranch_vccnz .LBB17_3
; %bb.5:                                ;   in Loop: Header=BB17_4 Depth=1
	s_and_saveexec_b32 s16, s0
	s_cbranch_execz .LBB17_2
; %bb.6:                                ;   in Loop: Header=BB17_4 Depth=1
	s_mul_u64 s[18:19], s[4:5], s[2:3]
	v_mad_co_u64_u32 v[5:6], null, s6, s2, v[1:2]
	s_wait_alu 0xfffe
	s_lshl_b64 s[18:19], s[18:19], 3
	v_mad_co_u64_u32 v[7:8], null, s10, s2, v[3:4]
	s_wait_alu 0xfffe
	s_add_nc_u64 s[18:19], s[8:9], s[18:19]
	s_load_b64 s[24:25], s[18:19], 0x0
	s_delay_alu instid0(VALU_DEP_1) | instskip(NEXT) | instid1(VALU_DEP_2)
	v_mad_co_u64_u32 v[10:11], null, s7, s2, v[6:7]
	v_mad_co_u64_u32 v[8:9], null, s11, s2, v[8:9]
	s_delay_alu instid0(VALU_DEP_2) | instskip(SKIP_4) | instid1(SALU_CYCLE_1)
	v_dual_mov_b32 v9, v0 :: v_dual_mov_b32 v6, v10
	s_wait_kmcnt 0x0
	s_mul_f32 s1, s15, s25
	s_mul_f32 s17, s14, s25
	s_wait_alu 0xfffe
	s_xor_b32 s18, s1, 0x80000000
	s_delay_alu instid0(SALU_CYCLE_1)
	s_fmac_f32 s17, s15, s24
	s_wait_alu 0xfffe
	s_fmac_f32 s18, s14, s24
	s_mov_b32 s14, 0
.LBB17_7:                               ;   Parent Loop BB17_4 Depth=1
                                        ; =>  This Inner Loop Header: Depth=2
	global_load_b64 v[10:11], v[7:8], off offset:-4
	global_load_b64 v[12:13], v[5:6], off offset:-4
	v_add_nc_u32_e32 v9, 0x400, v9
	v_add_co_u32 v7, vcc_lo, v7, s12
	s_wait_alu 0xfffd
	v_add_co_ci_u32_e64 v8, null, s13, v8, vcc_lo
	s_wait_loadcnt 0x1
	v_mul_f32_e32 v14, s17, v11
	v_cmp_le_i32_e32 vcc_lo, s29, v9
	s_wait_alu 0xfffe
	s_delay_alu instid0(VALU_DEP_2) | instskip(SKIP_2) | instid1(VALU_DEP_1)
	v_fma_f32 v14, s18, v10, -v14
	v_mul_f32_e32 v11, s18, v11
	s_or_b32 s14, vcc_lo, s14
	v_fmac_f32_e32 v11, s17, v10
	s_wait_loadcnt 0x0
	s_delay_alu instid0(VALU_DEP_1)
	v_dual_add_f32 v10, v12, v14 :: v_dual_add_f32 v11, v11, v13
	global_store_b64 v[5:6], v[10:11], off offset:-4
	v_add_co_u32 v5, s1, 0x2000, v5
	s_wait_alu 0xf1ff
	v_add_co_ci_u32_e64 v6, null, 0, v6, s1
	s_and_not1_b32 exec_lo, exec_lo, s14
	s_cbranch_execnz .LBB17_7
	s_branch .LBB17_2
.LBB17_8:
	s_endpgm
	.section	.rodata,"a",@progbits
	.p2align	6, 0x0
	.amdhsa_kernel _ZL19rocblas_sger_kernelILi1024E19rocblas_complex_numIfEPKS1_S3_PS1_EviiT1_lT2_lllS6_lllT3_lmli
		.amdhsa_group_segment_fixed_size 0
		.amdhsa_private_segment_fixed_size 0
		.amdhsa_kernarg_size 124
		.amdhsa_user_sgpr_count 2
		.amdhsa_user_sgpr_dispatch_ptr 0
		.amdhsa_user_sgpr_queue_ptr 0
		.amdhsa_user_sgpr_kernarg_segment_ptr 1
		.amdhsa_user_sgpr_dispatch_id 0
		.amdhsa_user_sgpr_private_segment_size 0
		.amdhsa_wavefront_size32 1
		.amdhsa_uses_dynamic_stack 0
		.amdhsa_enable_private_segment 0
		.amdhsa_system_sgpr_workgroup_id_x 1
		.amdhsa_system_sgpr_workgroup_id_y 0
		.amdhsa_system_sgpr_workgroup_id_z 1
		.amdhsa_system_sgpr_workgroup_info 0
		.amdhsa_system_vgpr_workitem_id 0
		.amdhsa_next_free_vgpr 15
		.amdhsa_next_free_sgpr 38
		.amdhsa_reserve_vcc 1
		.amdhsa_float_round_mode_32 0
		.amdhsa_float_round_mode_16_64 0
		.amdhsa_float_denorm_mode_32 3
		.amdhsa_float_denorm_mode_16_64 3
		.amdhsa_fp16_overflow 0
		.amdhsa_workgroup_processor_mode 1
		.amdhsa_memory_ordered 1
		.amdhsa_forward_progress 1
		.amdhsa_inst_pref_size 6
		.amdhsa_round_robin_scheduling 0
		.amdhsa_exception_fp_ieee_invalid_op 0
		.amdhsa_exception_fp_denorm_src 0
		.amdhsa_exception_fp_ieee_div_zero 0
		.amdhsa_exception_fp_ieee_overflow 0
		.amdhsa_exception_fp_ieee_underflow 0
		.amdhsa_exception_fp_ieee_inexact 0
		.amdhsa_exception_int_div_zero 0
	.end_amdhsa_kernel
	.section	.text._ZL19rocblas_sger_kernelILi1024E19rocblas_complex_numIfEPKS1_S3_PS1_EviiT1_lT2_lllS6_lllT3_lmli,"axG",@progbits,_ZL19rocblas_sger_kernelILi1024E19rocblas_complex_numIfEPKS1_S3_PS1_EviiT1_lT2_lllS6_lllT3_lmli,comdat
.Lfunc_end17:
	.size	_ZL19rocblas_sger_kernelILi1024E19rocblas_complex_numIfEPKS1_S3_PS1_EviiT1_lT2_lllS6_lllT3_lmli, .Lfunc_end17-_ZL19rocblas_sger_kernelILi1024E19rocblas_complex_numIfEPKS1_S3_PS1_EviiT1_lT2_lllS6_lllT3_lmli
                                        ; -- End function
	.set _ZL19rocblas_sger_kernelILi1024E19rocblas_complex_numIfEPKS1_S3_PS1_EviiT1_lT2_lllS6_lllT3_lmli.num_vgpr, 15
	.set _ZL19rocblas_sger_kernelILi1024E19rocblas_complex_numIfEPKS1_S3_PS1_EviiT1_lT2_lllS6_lllT3_lmli.num_agpr, 0
	.set _ZL19rocblas_sger_kernelILi1024E19rocblas_complex_numIfEPKS1_S3_PS1_EviiT1_lT2_lllS6_lllT3_lmli.numbered_sgpr, 38
	.set _ZL19rocblas_sger_kernelILi1024E19rocblas_complex_numIfEPKS1_S3_PS1_EviiT1_lT2_lllS6_lllT3_lmli.num_named_barrier, 0
	.set _ZL19rocblas_sger_kernelILi1024E19rocblas_complex_numIfEPKS1_S3_PS1_EviiT1_lT2_lllS6_lllT3_lmli.private_seg_size, 0
	.set _ZL19rocblas_sger_kernelILi1024E19rocblas_complex_numIfEPKS1_S3_PS1_EviiT1_lT2_lllS6_lllT3_lmli.uses_vcc, 1
	.set _ZL19rocblas_sger_kernelILi1024E19rocblas_complex_numIfEPKS1_S3_PS1_EviiT1_lT2_lllS6_lllT3_lmli.uses_flat_scratch, 0
	.set _ZL19rocblas_sger_kernelILi1024E19rocblas_complex_numIfEPKS1_S3_PS1_EviiT1_lT2_lllS6_lllT3_lmli.has_dyn_sized_stack, 0
	.set _ZL19rocblas_sger_kernelILi1024E19rocblas_complex_numIfEPKS1_S3_PS1_EviiT1_lT2_lllS6_lllT3_lmli.has_recursion, 0
	.set _ZL19rocblas_sger_kernelILi1024E19rocblas_complex_numIfEPKS1_S3_PS1_EviiT1_lT2_lllS6_lllT3_lmli.has_indirect_call, 0
	.section	.AMDGPU.csdata,"",@progbits
; Kernel info:
; codeLenInByte = 668
; TotalNumSgprs: 40
; NumVgprs: 15
; ScratchSize: 0
; MemoryBound: 0
; FloatMode: 240
; IeeeMode: 1
; LDSByteSize: 0 bytes/workgroup (compile time only)
; SGPRBlocks: 0
; VGPRBlocks: 1
; NumSGPRsForWavesPerEU: 40
; NumVGPRsForWavesPerEU: 15
; Occupancy: 16
; WaveLimiterHint : 0
; COMPUTE_PGM_RSRC2:SCRATCH_EN: 0
; COMPUTE_PGM_RSRC2:USER_SGPR: 2
; COMPUTE_PGM_RSRC2:TRAP_HANDLER: 0
; COMPUTE_PGM_RSRC2:TGID_X_EN: 1
; COMPUTE_PGM_RSRC2:TGID_Y_EN: 0
; COMPUTE_PGM_RSRC2:TGID_Z_EN: 1
; COMPUTE_PGM_RSRC2:TIDIG_COMP_CNT: 0
	.section	.text._ZL19rocblas_sger_kernelILi1024E19rocblas_complex_numIfES1_PKS1_PS1_EviiT1_lT2_lllS6_lllT3_lmli,"axG",@progbits,_ZL19rocblas_sger_kernelILi1024E19rocblas_complex_numIfES1_PKS1_PS1_EviiT1_lT2_lllS6_lllT3_lmli,comdat
	.globl	_ZL19rocblas_sger_kernelILi1024E19rocblas_complex_numIfES1_PKS1_PS1_EviiT1_lT2_lllS6_lllT3_lmli ; -- Begin function _ZL19rocblas_sger_kernelILi1024E19rocblas_complex_numIfES1_PKS1_PS1_EviiT1_lT2_lllS6_lllT3_lmli
	.p2align	8
	.type	_ZL19rocblas_sger_kernelILi1024E19rocblas_complex_numIfES1_PKS1_PS1_EviiT1_lT2_lllS6_lllT3_lmli,@function
_ZL19rocblas_sger_kernelILi1024E19rocblas_complex_numIfES1_PKS1_PS1_EviiT1_lT2_lllS6_lllT3_lmli: ; @_ZL19rocblas_sger_kernelILi1024E19rocblas_complex_numIfES1_PKS1_PS1_EviiT1_lT2_lllS6_lllT3_lmli
; %bb.0:
	s_load_b32 s26, s[0:1], 0x78
	s_lshr_b32 s2, ttmp7, 16
	s_wait_kmcnt 0x0
	s_cmp_ge_u32 s2, s26
	s_cbranch_scc1 .LBB18_8
; %bb.1:
	s_clause 0x6
	s_load_b128 s[20:23], s[0:1], 0x20
	s_load_b256 s[12:19], s[0:1], 0x30
	s_load_b64 s[24:25], s[0:1], 0x8
	s_load_b32 s27, s[0:1], 0x0
	s_load_b256 s[4:11], s[0:1], 0x50
	s_load_b64 s[30:31], s[0:1], 0x18
	s_load_b64 s[34:35], s[0:1], 0x70
	s_mov_b32 s28, ttmp9
	s_mov_b32 s3, 0
	s_wait_kmcnt 0x0
	v_mad_co_u64_u32 v[1:2], null, s22, v0, 0
	s_lshl_b64 s[16:17], s[16:17], 3
	v_cmp_gt_i32_e64 s0, s27, v0
	s_cmp_neq_f32 s24, 0
	s_add_nc_u64 s[14:15], s[14:15], s[16:17]
	s_cselect_b32 s1, -1, 0
	v_cndmask_b32_e64 v3, 0, v0, s0
	s_cmp_neq_f32 s25, 0
	s_cselect_b32 s33, -1, 0
	s_delay_alu instid0(VALU_DEP_1)
	v_lshlrev_b32_e32 v4, 3, v3
	v_mad_co_u64_u32 v[2:3], null, s23, v0, v[2:3]
	s_ashr_i32 s29, ttmp9, 31
	s_lshl_b64 s[8:9], s[8:9], 3
	s_mul_u64 s[10:11], s[10:11], s[28:29]
	s_lshl_b64 s[16:17], s[20:21], 3
	s_lshl_b64 s[10:11], s[10:11], 3
	s_add_nc_u64 s[16:17], s[30:31], s[16:17]
	s_add_nc_u64 s[10:11], s[10:11], s[8:9]
	v_lshlrev_b64_e32 v[1:2], 3, v[1:2]
	s_add_nc_u64 s[6:7], s[6:7], s[10:11]
	s_mul_u64 s[18:19], s[18:19], s[28:29]
	v_add_co_u32 v3, s6, s6, v4
	s_wait_alu 0xf1ff
	v_add_co_ci_u32_e64 v4, null, s7, 0, s6
	v_add_co_u32 v5, vcc_lo, s16, v1
	s_delay_alu instid0(VALU_DEP_1)
	v_add_co_ci_u32_e64 v6, null, s17, v2, vcc_lo
	v_add_co_u32 v1, vcc_lo, v3, 4
	s_wait_alu 0xfffd
	v_add_co_ci_u32_e64 v2, null, 0, v4, vcc_lo
	v_add_co_u32 v3, vcc_lo, v5, 4
	s_wait_alu 0xfffd
	v_add_co_ci_u32_e64 v4, null, 0, v6, vcc_lo
	s_lshl_b64 s[18:19], s[18:19], 3
	s_lshl_b64 s[6:7], s[34:35], 3
	s_add_nc_u64 s[8:9], s[14:15], s[18:19]
	s_or_b32 s14, s1, s33
	s_lshl_b64 s[10:11], s[12:13], 3
	s_lshl_b64 s[12:13], s[22:23], 13
	s_branch .LBB18_4
.LBB18_2:                               ;   in Loop: Header=BB18_4 Depth=1
	s_or_b32 exec_lo, exec_lo, s15
.LBB18_3:                               ;   in Loop: Header=BB18_4 Depth=1
	s_add_co_i32 s2, s2, 0x10000
	s_wait_alu 0xfffe
	s_cmp_lt_u32 s2, s26
	s_cbranch_scc0 .LBB18_8
.LBB18_4:                               ; =>This Loop Header: Depth=1
                                        ;     Child Loop BB18_7 Depth 2
	s_and_not1_b32 vcc_lo, exec_lo, s14
	s_wait_alu 0xfffe
	s_cbranch_vccnz .LBB18_3
; %bb.5:                                ;   in Loop: Header=BB18_4 Depth=1
	s_and_saveexec_b32 s15, s0
	s_cbranch_execz .LBB18_2
; %bb.6:                                ;   in Loop: Header=BB18_4 Depth=1
	s_mul_u64 s[16:17], s[4:5], s[2:3]
	v_mad_co_u64_u32 v[5:6], null, s6, s2, v[1:2]
	s_wait_alu 0xfffe
	s_lshl_b64 s[16:17], s[16:17], 3
	v_mad_co_u64_u32 v[7:8], null, s10, s2, v[3:4]
	s_wait_alu 0xfffe
	s_add_nc_u64 s[16:17], s[8:9], s[16:17]
	s_load_b64 s[18:19], s[16:17], 0x0
	s_delay_alu instid0(VALU_DEP_1) | instskip(NEXT) | instid1(VALU_DEP_2)
	v_mad_co_u64_u32 v[10:11], null, s7, s2, v[6:7]
	v_mad_co_u64_u32 v[8:9], null, s11, s2, v[8:9]
	s_delay_alu instid0(VALU_DEP_2) | instskip(SKIP_4) | instid1(SALU_CYCLE_1)
	v_dual_mov_b32 v9, v0 :: v_dual_mov_b32 v6, v10
	s_wait_kmcnt 0x0
	s_mul_f32 s1, s25, s19
	s_mul_f32 s16, s24, s19
	s_wait_alu 0xfffe
	s_xor_b32 s17, s1, 0x80000000
	s_delay_alu instid0(SALU_CYCLE_1)
	s_fmac_f32 s16, s25, s18
	s_wait_alu 0xfffe
	s_fmac_f32 s17, s24, s18
	s_mov_b32 s18, 0
.LBB18_7:                               ;   Parent Loop BB18_4 Depth=1
                                        ; =>  This Inner Loop Header: Depth=2
	global_load_b64 v[10:11], v[7:8], off offset:-4
	global_load_b64 v[12:13], v[5:6], off offset:-4
	v_add_nc_u32_e32 v9, 0x400, v9
	v_add_co_u32 v7, vcc_lo, v7, s12
	s_wait_alu 0xfffd
	v_add_co_ci_u32_e64 v8, null, s13, v8, vcc_lo
	s_wait_loadcnt 0x1
	v_mul_f32_e32 v14, s16, v11
	v_cmp_le_i32_e32 vcc_lo, s27, v9
	s_wait_alu 0xfffe
	s_delay_alu instid0(VALU_DEP_2) | instskip(SKIP_2) | instid1(VALU_DEP_1)
	v_fma_f32 v14, s17, v10, -v14
	v_mul_f32_e32 v11, s17, v11
	s_or_b32 s18, vcc_lo, s18
	v_fmac_f32_e32 v11, s16, v10
	s_wait_loadcnt 0x0
	s_delay_alu instid0(VALU_DEP_1)
	v_dual_add_f32 v10, v12, v14 :: v_dual_add_f32 v11, v11, v13
	global_store_b64 v[5:6], v[10:11], off offset:-4
	v_add_co_u32 v5, s1, 0x2000, v5
	s_wait_alu 0xf1ff
	v_add_co_ci_u32_e64 v6, null, 0, v6, s1
	s_and_not1_b32 exec_lo, exec_lo, s18
	s_cbranch_execnz .LBB18_7
	s_branch .LBB18_2
.LBB18_8:
	s_endpgm
	.section	.rodata,"a",@progbits
	.p2align	6, 0x0
	.amdhsa_kernel _ZL19rocblas_sger_kernelILi1024E19rocblas_complex_numIfES1_PKS1_PS1_EviiT1_lT2_lllS6_lllT3_lmli
		.amdhsa_group_segment_fixed_size 0
		.amdhsa_private_segment_fixed_size 0
		.amdhsa_kernarg_size 124
		.amdhsa_user_sgpr_count 2
		.amdhsa_user_sgpr_dispatch_ptr 0
		.amdhsa_user_sgpr_queue_ptr 0
		.amdhsa_user_sgpr_kernarg_segment_ptr 1
		.amdhsa_user_sgpr_dispatch_id 0
		.amdhsa_user_sgpr_private_segment_size 0
		.amdhsa_wavefront_size32 1
		.amdhsa_uses_dynamic_stack 0
		.amdhsa_enable_private_segment 0
		.amdhsa_system_sgpr_workgroup_id_x 1
		.amdhsa_system_sgpr_workgroup_id_y 0
		.amdhsa_system_sgpr_workgroup_id_z 1
		.amdhsa_system_sgpr_workgroup_info 0
		.amdhsa_system_vgpr_workitem_id 0
		.amdhsa_next_free_vgpr 15
		.amdhsa_next_free_sgpr 36
		.amdhsa_reserve_vcc 1
		.amdhsa_float_round_mode_32 0
		.amdhsa_float_round_mode_16_64 0
		.amdhsa_float_denorm_mode_32 3
		.amdhsa_float_denorm_mode_16_64 3
		.amdhsa_fp16_overflow 0
		.amdhsa_workgroup_processor_mode 1
		.amdhsa_memory_ordered 1
		.amdhsa_forward_progress 1
		.amdhsa_inst_pref_size 5
		.amdhsa_round_robin_scheduling 0
		.amdhsa_exception_fp_ieee_invalid_op 0
		.amdhsa_exception_fp_denorm_src 0
		.amdhsa_exception_fp_ieee_div_zero 0
		.amdhsa_exception_fp_ieee_overflow 0
		.amdhsa_exception_fp_ieee_underflow 0
		.amdhsa_exception_fp_ieee_inexact 0
		.amdhsa_exception_int_div_zero 0
	.end_amdhsa_kernel
	.section	.text._ZL19rocblas_sger_kernelILi1024E19rocblas_complex_numIfES1_PKS1_PS1_EviiT1_lT2_lllS6_lllT3_lmli,"axG",@progbits,_ZL19rocblas_sger_kernelILi1024E19rocblas_complex_numIfES1_PKS1_PS1_EviiT1_lT2_lllS6_lllT3_lmli,comdat
.Lfunc_end18:
	.size	_ZL19rocblas_sger_kernelILi1024E19rocblas_complex_numIfES1_PKS1_PS1_EviiT1_lT2_lllS6_lllT3_lmli, .Lfunc_end18-_ZL19rocblas_sger_kernelILi1024E19rocblas_complex_numIfES1_PKS1_PS1_EviiT1_lT2_lllS6_lllT3_lmli
                                        ; -- End function
	.set _ZL19rocblas_sger_kernelILi1024E19rocblas_complex_numIfES1_PKS1_PS1_EviiT1_lT2_lllS6_lllT3_lmli.num_vgpr, 15
	.set _ZL19rocblas_sger_kernelILi1024E19rocblas_complex_numIfES1_PKS1_PS1_EviiT1_lT2_lllS6_lllT3_lmli.num_agpr, 0
	.set _ZL19rocblas_sger_kernelILi1024E19rocblas_complex_numIfES1_PKS1_PS1_EviiT1_lT2_lllS6_lllT3_lmli.numbered_sgpr, 36
	.set _ZL19rocblas_sger_kernelILi1024E19rocblas_complex_numIfES1_PKS1_PS1_EviiT1_lT2_lllS6_lllT3_lmli.num_named_barrier, 0
	.set _ZL19rocblas_sger_kernelILi1024E19rocblas_complex_numIfES1_PKS1_PS1_EviiT1_lT2_lllS6_lllT3_lmli.private_seg_size, 0
	.set _ZL19rocblas_sger_kernelILi1024E19rocblas_complex_numIfES1_PKS1_PS1_EviiT1_lT2_lllS6_lllT3_lmli.uses_vcc, 1
	.set _ZL19rocblas_sger_kernelILi1024E19rocblas_complex_numIfES1_PKS1_PS1_EviiT1_lT2_lllS6_lllT3_lmli.uses_flat_scratch, 0
	.set _ZL19rocblas_sger_kernelILi1024E19rocblas_complex_numIfES1_PKS1_PS1_EviiT1_lT2_lllS6_lllT3_lmli.has_dyn_sized_stack, 0
	.set _ZL19rocblas_sger_kernelILi1024E19rocblas_complex_numIfES1_PKS1_PS1_EviiT1_lT2_lllS6_lllT3_lmli.has_recursion, 0
	.set _ZL19rocblas_sger_kernelILi1024E19rocblas_complex_numIfES1_PKS1_PS1_EviiT1_lT2_lllS6_lllT3_lmli.has_indirect_call, 0
	.section	.AMDGPU.csdata,"",@progbits
; Kernel info:
; codeLenInByte = 632
; TotalNumSgprs: 38
; NumVgprs: 15
; ScratchSize: 0
; MemoryBound: 0
; FloatMode: 240
; IeeeMode: 1
; LDSByteSize: 0 bytes/workgroup (compile time only)
; SGPRBlocks: 0
; VGPRBlocks: 1
; NumSGPRsForWavesPerEU: 38
; NumVGPRsForWavesPerEU: 15
; Occupancy: 16
; WaveLimiterHint : 1
; COMPUTE_PGM_RSRC2:SCRATCH_EN: 0
; COMPUTE_PGM_RSRC2:USER_SGPR: 2
; COMPUTE_PGM_RSRC2:TRAP_HANDLER: 0
; COMPUTE_PGM_RSRC2:TGID_X_EN: 1
; COMPUTE_PGM_RSRC2:TGID_Y_EN: 0
; COMPUTE_PGM_RSRC2:TGID_Z_EN: 1
; COMPUTE_PGM_RSRC2:TIDIG_COMP_CNT: 0
	.section	.text._ZL18rocblas_ger_kernelILi32ELi32ELi2ELb0E19rocblas_complex_numIfEPKS1_S3_PS1_EviiT4_lT5_lllS6_lllT6_lmli,"axG",@progbits,_ZL18rocblas_ger_kernelILi32ELi32ELi2ELb0E19rocblas_complex_numIfEPKS1_S3_PS1_EviiT4_lT5_lllS6_lllT6_lmli,comdat
	.globl	_ZL18rocblas_ger_kernelILi32ELi32ELi2ELb0E19rocblas_complex_numIfEPKS1_S3_PS1_EviiT4_lT5_lllS6_lllT6_lmli ; -- Begin function _ZL18rocblas_ger_kernelILi32ELi32ELi2ELb0E19rocblas_complex_numIfEPKS1_S3_PS1_EviiT4_lT5_lllS6_lllT6_lmli
	.p2align	8
	.type	_ZL18rocblas_ger_kernelILi32ELi32ELi2ELb0E19rocblas_complex_numIfEPKS1_S3_PS1_EviiT4_lT5_lllS6_lllT6_lmli,@function
_ZL18rocblas_ger_kernelILi32ELi32ELi2ELb0E19rocblas_complex_numIfEPKS1_S3_PS1_EviiT4_lT5_lllS6_lllT6_lmli: ; @_ZL18rocblas_ger_kernelILi32ELi32ELi2ELb0E19rocblas_complex_numIfEPKS1_S3_PS1_EviiT4_lT5_lllS6_lllT6_lmli
; %bb.0:
	s_load_b32 s33, s[0:1], 0x78
	s_lshr_b32 s28, ttmp7, 16
	s_wait_kmcnt 0x0
	s_cmp_ge_u32 s28, s33
	s_cbranch_scc1 .LBB19_18
; %bb.1:
	s_clause 0x3
	s_load_b64 s[34:35], s[0:1], 0x0
	s_load_b128 s[24:27], s[0:1], 0x8
	s_load_b256 s[8:15], s[0:1], 0x50
	s_load_b256 s[16:23], s[0:1], 0x30
	v_and_b32_e32 v2, 0x3ff, v0
	s_wait_kmcnt 0x0
	s_add_co_i32 s2, s34, -1
	s_delay_alu instid0(SALU_CYCLE_1) | instskip(NEXT) | instid1(SALU_CYCLE_1)
	s_ashr_i32 s3, s2, 31
	s_lshr_b32 s3, s3, 27
	s_delay_alu instid0(SALU_CYCLE_1) | instskip(NEXT) | instid1(SALU_CYCLE_1)
	s_add_co_i32 s2, s2, s3
	s_ashr_i32 s29, s2, 5
	s_delay_alu instid0(SALU_CYCLE_1) | instskip(NEXT) | instid1(SALU_CYCLE_1)
	s_add_co_i32 s36, s29, 1
	s_cvt_f32_u32 s2, s36
	s_delay_alu instid0(SALU_CYCLE_3) | instskip(NEXT) | instid1(TRANS32_DEP_1)
	v_rcp_iflag_f32_e32 v1, s2
	v_readfirstlane_b32 s2, v1
	v_bfe_u32 v1, v0, 10, 10
	s_mul_f32 s30, s2, 0x4f7ffffe
	s_clause 0x1
	s_load_b64 s[2:3], s[0:1], 0x18
	s_load_b128 s[4:7], s[0:1], 0x20
	v_lshlrev_b32_e32 v0, 1, v1
	v_lshlrev_b32_e32 v8, 4, v1
	s_cvt_u32_f32 s37, s30
	s_load_b64 s[30:31], s[0:1], 0x70
	s_not_b32 s0, s29
	s_delay_alu instid0(SALU_CYCLE_1) | instskip(NEXT) | instid1(SALU_CYCLE_1)
	s_mul_i32 s0, s0, s37
	s_mul_hi_u32 s1, s37, s0
	v_cmp_eq_u32_e64 s0, 0, v1
	s_add_co_i32 s37, s37, s1
	s_delay_alu instid0(SALU_CYCLE_1) | instskip(NEXT) | instid1(SALU_CYCLE_1)
	s_mul_hi_u32 s29, ttmp9, s37
	s_mul_i32 s37, s29, s36
	s_add_co_i32 s38, s29, 1
	s_sub_co_i32 s37, ttmp9, s37
	s_delay_alu instid0(SALU_CYCLE_1)
	s_sub_co_i32 s39, s37, s36
	s_cmp_ge_u32 s37, s36
	s_cselect_b32 s29, s38, s29
	s_cselect_b32 s37, s39, s37
	s_add_co_i32 s38, s29, 1
	s_cmp_ge_u32 s37, s36
	s_cselect_b32 s29, s38, s29
	s_lshl_b64 s[12:13], s[12:13], 3
	v_lshl_add_u32 v1, s29, 6, v0
	s_lshl_b64 s[20:21], s[20:21], 3
	s_mul_i32 s29, s29, s36
	s_add_nc_u64 s[10:11], s[10:11], s[12:13]
	s_add_nc_u64 s[12:13], s[18:19], s[20:21]
	s_wait_alu 0xfffe
	s_sub_co_i32 s20, ttmp9, s29
	v_or_b32_e32 v15, v1, v2
	v_lshl_add_u32 v0, s20, 5, v2
	v_ashrrev_i32_e32 v11, 31, v1
	s_wait_kmcnt 0x0
	s_lshl_b64 s[4:5], s[4:5], 3
	v_mul_lo_u32 v16, s15, v1
	v_mad_co_u64_u32 v[4:5], null, s22, v15, 0
	v_mad_co_u64_u32 v[6:7], null, s6, v0, 0
	v_mul_lo_u32 v19, s14, v11
	s_add_nc_u64 s[18:19], s[2:3], s[4:5]
	v_cmp_gt_i32_e64 s2, s35, v1
	v_or_b32_e32 v17, 1, v1
	v_mul_lo_u32 v18, s7, v0
	v_cmp_gt_i32_e64 s3, s34, v0
	v_mad_co_u64_u32 v[11:12], null, s23, v15, v[5:6]
	s_delay_alu instid0(VALU_DEP_4)
	v_mul_lo_u32 v21, s15, v17
	v_mad_co_u64_u32 v[13:14], null, s14, v17, 0
	v_cmp_gt_u32_e64 s4, s35, v15
	v_cmp_gt_i32_e64 s5, s35, v17
	v_mov_b32_e32 v17, 0
	v_mov_b32_e32 v5, v11
	v_lshlrev_b32_e32 v3, 3, v2
	v_cmp_gt_u32_e64 s1, 2, v2
	v_add3_u32 v14, v14, v19, v21
	s_mov_b32 s29, 0
	v_lshlrev_b64_e32 v[4:5], 3, v[4:5]
	v_add_nc_u32_e32 v9, 0x200, v3
	v_add_nc_u32_e32 v10, v8, v3
	v_mad_co_u64_u32 v[2:3], null, s14, v1, 0
	v_ashrrev_i32_e32 v1, 31, v0
	s_delay_alu instid0(VALU_DEP_1) | instskip(SKIP_1) | instid1(VALU_DEP_4)
	v_mul_lo_u32 v20, s6, v1
	v_lshlrev_b64_e32 v[0:1], 3, v[0:1]
	v_add3_u32 v3, v3, v19, v16
	s_delay_alu instid0(VALU_DEP_2) | instskip(NEXT) | instid1(VALU_DEP_4)
	v_add_co_u32 v11, vcc_lo, s10, v0
	v_add3_u32 v7, v7, v20, v18
	s_delay_alu instid0(VALU_DEP_4) | instskip(NEXT) | instid1(VALU_DEP_4)
	v_add_co_ci_u32_e64 v12, null, s11, v1, vcc_lo
	v_lshlrev_b64_e32 v[0:1], 3, v[2:3]
	v_lshlrev_b64_e32 v[2:3], 3, v[13:14]
	s_delay_alu instid0(VALU_DEP_4) | instskip(NEXT) | instid1(VALU_DEP_1)
	v_lshlrev_b64_e32 v[6:7], 3, v[6:7]
	v_add_co_u32 v13, vcc_lo, s18, v6
	s_wait_alu 0xfffd
	s_delay_alu instid0(VALU_DEP_2)
	v_add_co_ci_u32_e64 v14, null, s19, v7, vcc_lo
	v_add_co_u32 v15, vcc_lo, s12, v4
	s_wait_alu 0xfffd
	v_add_co_ci_u32_e64 v16, null, s13, v5, vcc_lo
	s_branch .LBB19_4
.LBB19_2:                               ;   in Loop: Header=BB19_4 Depth=1
	s_wait_alu 0xfffe
	s_or_b32 exec_lo, exec_lo, s6
.LBB19_3:                               ;   in Loop: Header=BB19_4 Depth=1
	s_add_co_i32 s28, s28, 0x10000
	s_wait_alu 0xfffe
	s_cmp_lt_u32 s28, s33
	s_cbranch_scc0 .LBB19_18
.LBB19_4:                               ; =>This Inner Loop Header: Depth=1
	s_wait_alu 0xfffe
	s_mul_u64 s[6:7], s[26:27], s[28:29]
	s_wait_alu 0xfffe
	s_lshl_b64 s[6:7], s[6:7], 3
	s_wait_alu 0xfffe
	s_add_nc_u64 s[6:7], s[24:25], s[6:7]
	global_load_b64 v[4:5], v17, s[6:7]
	s_wait_loadcnt 0x0
	v_or_b32_e32 v6, v4, v5
	s_delay_alu instid0(VALU_DEP_1) | instskip(NEXT) | instid1(VALU_DEP_1)
	v_and_b32_e32 v6, 0x7fffffff, v6
	v_cmp_eq_u32_e32 vcc_lo, 0, v6
	s_cbranch_vccnz .LBB19_3
; %bb.5:                                ;   in Loop: Header=BB19_4 Depth=1
	s_and_saveexec_b32 s6, s0
	s_cbranch_execz .LBB19_9
; %bb.6:                                ;   in Loop: Header=BB19_4 Depth=1
	v_dual_mov_b32 v6, 0 :: v_dual_mov_b32 v7, 0
	s_and_saveexec_b32 s7, s3
	s_cbranch_execz .LBB19_8
; %bb.7:                                ;   in Loop: Header=BB19_4 Depth=1
	s_mul_u64 s[10:11], s[16:17], s[28:29]
	s_wait_alu 0xfffe
	s_lshl_b64 s[10:11], s[10:11], 3
	s_wait_alu 0xfffe
	v_add_co_u32 v6, vcc_lo, v13, s10
	s_wait_alu 0xfffd
	v_add_co_ci_u32_e64 v7, null, s11, v14, vcc_lo
	global_load_b64 v[6:7], v[6:7], off
.LBB19_8:                               ;   in Loop: Header=BB19_4 Depth=1
	s_wait_alu 0xfffe
	s_or_b32 exec_lo, exec_lo, s7
	s_wait_loadcnt 0x0
	ds_store_b64 v9, v[6:7]
.LBB19_9:                               ;   in Loop: Header=BB19_4 Depth=1
	s_wait_alu 0xfffe
	s_or_b32 exec_lo, exec_lo, s6
	s_and_saveexec_b32 s6, s1
	s_cbranch_execz .LBB19_13
; %bb.10:                               ;   in Loop: Header=BB19_4 Depth=1
	v_dual_mov_b32 v6, 0 :: v_dual_mov_b32 v7, 0
	s_and_saveexec_b32 s7, s4
	s_cbranch_execz .LBB19_12
; %bb.11:                               ;   in Loop: Header=BB19_4 Depth=1
	s_mul_u64 s[10:11], s[8:9], s[28:29]
	s_wait_alu 0xfffe
	s_lshl_b64 s[10:11], s[10:11], 3
	s_wait_alu 0xfffe
	v_add_co_u32 v6, vcc_lo, v15, s10
	s_wait_alu 0xfffd
	v_add_co_ci_u32_e64 v7, null, s11, v16, vcc_lo
	global_load_b64 v[6:7], v[6:7], off
.LBB19_12:                              ;   in Loop: Header=BB19_4 Depth=1
	s_wait_alu 0xfffe
	s_or_b32 exec_lo, exec_lo, s7
	s_wait_loadcnt 0x0
	ds_store_b64 v10, v[6:7]
.LBB19_13:                              ;   in Loop: Header=BB19_4 Depth=1
	s_wait_alu 0xfffe
	s_or_b32 exec_lo, exec_lo, s6
	s_wait_dscnt 0x0
	s_barrier_signal -1
	s_barrier_wait -1
	global_inv scope:SCOPE_SE
	s_and_saveexec_b32 s6, s3
	s_cbranch_execz .LBB19_2
; %bb.14:                               ;   in Loop: Header=BB19_4 Depth=1
	ds_load_b64 v[18:19], v9
	s_mul_u64 s[10:11], s[30:31], s[28:29]
	s_wait_alu 0xfffe
	s_lshl_b64 s[10:11], s[10:11], 3
	s_wait_dscnt 0x0
	v_mul_f32_e32 v6, v19, v4
	v_mul_f32_e32 v7, v19, v5
	s_delay_alu instid0(VALU_DEP_2) | instskip(SKIP_2) | instid1(VALU_DEP_3)
	v_fmac_f32_e32 v6, v18, v5
	s_wait_alu 0xfffe
	v_add_co_u32 v5, vcc_lo, v11, s10
	v_fma_f32 v4, v18, v4, -v7
	s_wait_alu 0xfffd
	v_add_co_ci_u32_e64 v7, null, s11, v12, vcc_lo
	s_and_saveexec_b32 s7, s2
	s_cbranch_execz .LBB19_16
; %bb.15:                               ;   in Loop: Header=BB19_4 Depth=1
	v_add_co_u32 v18, vcc_lo, v5, v0
	s_wait_alu 0xfffd
	v_add_co_ci_u32_e64 v19, null, v7, v1, vcc_lo
	ds_load_b64 v[22:23], v8
	global_load_b64 v[20:21], v[18:19], off
	s_wait_dscnt 0x0
	v_mul_f32_e32 v24, v6, v23
	v_mul_f32_e32 v23, v4, v23
	s_delay_alu instid0(VALU_DEP_1) | instskip(SKIP_1) | instid1(VALU_DEP_1)
	v_fmac_f32_e32 v23, v6, v22
	s_wait_loadcnt 0x0
	v_add_f32_e32 v21, v23, v21
	v_fma_f32 v24, v4, v22, -v24
	s_delay_alu instid0(VALU_DEP_1)
	v_add_f32_e32 v20, v20, v24
	global_store_b64 v[18:19], v[20:21], off
.LBB19_16:                              ;   in Loop: Header=BB19_4 Depth=1
	s_wait_alu 0xfffe
	s_or_b32 exec_lo, exec_lo, s7
	s_delay_alu instid0(SALU_CYCLE_1)
	s_and_b32 exec_lo, exec_lo, s5
	s_cbranch_execz .LBB19_2
; %bb.17:                               ;   in Loop: Header=BB19_4 Depth=1
	v_add_co_u32 v18, vcc_lo, v5, v2
	s_wait_alu 0xfffd
	v_add_co_ci_u32_e64 v19, null, v7, v3, vcc_lo
	ds_load_b64 v[22:23], v8 offset:8
	global_load_b64 v[20:21], v[18:19], off
	s_wait_dscnt 0x0
	v_mul_f32_e32 v5, v6, v23
	v_mul_f32_e32 v7, v4, v23
	s_delay_alu instid0(VALU_DEP_2) | instskip(SKIP_1) | instid1(VALU_DEP_1)
	v_fma_f32 v4, v4, v22, -v5
	s_wait_loadcnt 0x0
	v_dual_fmac_f32 v7, v6, v22 :: v_dual_add_f32 v4, v20, v4
	s_delay_alu instid0(VALU_DEP_1)
	v_add_f32_e32 v5, v7, v21
	global_store_b64 v[18:19], v[4:5], off
	s_branch .LBB19_2
.LBB19_18:
	s_endpgm
	.section	.rodata,"a",@progbits
	.p2align	6, 0x0
	.amdhsa_kernel _ZL18rocblas_ger_kernelILi32ELi32ELi2ELb0E19rocblas_complex_numIfEPKS1_S3_PS1_EviiT4_lT5_lllS6_lllT6_lmli
		.amdhsa_group_segment_fixed_size 768
		.amdhsa_private_segment_fixed_size 0
		.amdhsa_kernarg_size 124
		.amdhsa_user_sgpr_count 2
		.amdhsa_user_sgpr_dispatch_ptr 0
		.amdhsa_user_sgpr_queue_ptr 0
		.amdhsa_user_sgpr_kernarg_segment_ptr 1
		.amdhsa_user_sgpr_dispatch_id 0
		.amdhsa_user_sgpr_private_segment_size 0
		.amdhsa_wavefront_size32 1
		.amdhsa_uses_dynamic_stack 0
		.amdhsa_enable_private_segment 0
		.amdhsa_system_sgpr_workgroup_id_x 1
		.amdhsa_system_sgpr_workgroup_id_y 0
		.amdhsa_system_sgpr_workgroup_id_z 1
		.amdhsa_system_sgpr_workgroup_info 0
		.amdhsa_system_vgpr_workitem_id 1
		.amdhsa_next_free_vgpr 25
		.amdhsa_next_free_sgpr 40
		.amdhsa_reserve_vcc 1
		.amdhsa_float_round_mode_32 0
		.amdhsa_float_round_mode_16_64 0
		.amdhsa_float_denorm_mode_32 3
		.amdhsa_float_denorm_mode_16_64 3
		.amdhsa_fp16_overflow 0
		.amdhsa_workgroup_processor_mode 1
		.amdhsa_memory_ordered 1
		.amdhsa_forward_progress 1
		.amdhsa_inst_pref_size 10
		.amdhsa_round_robin_scheduling 0
		.amdhsa_exception_fp_ieee_invalid_op 0
		.amdhsa_exception_fp_denorm_src 0
		.amdhsa_exception_fp_ieee_div_zero 0
		.amdhsa_exception_fp_ieee_overflow 0
		.amdhsa_exception_fp_ieee_underflow 0
		.amdhsa_exception_fp_ieee_inexact 0
		.amdhsa_exception_int_div_zero 0
	.end_amdhsa_kernel
	.section	.text._ZL18rocblas_ger_kernelILi32ELi32ELi2ELb0E19rocblas_complex_numIfEPKS1_S3_PS1_EviiT4_lT5_lllS6_lllT6_lmli,"axG",@progbits,_ZL18rocblas_ger_kernelILi32ELi32ELi2ELb0E19rocblas_complex_numIfEPKS1_S3_PS1_EviiT4_lT5_lllS6_lllT6_lmli,comdat
.Lfunc_end19:
	.size	_ZL18rocblas_ger_kernelILi32ELi32ELi2ELb0E19rocblas_complex_numIfEPKS1_S3_PS1_EviiT4_lT5_lllS6_lllT6_lmli, .Lfunc_end19-_ZL18rocblas_ger_kernelILi32ELi32ELi2ELb0E19rocblas_complex_numIfEPKS1_S3_PS1_EviiT4_lT5_lllS6_lllT6_lmli
                                        ; -- End function
	.set _ZL18rocblas_ger_kernelILi32ELi32ELi2ELb0E19rocblas_complex_numIfEPKS1_S3_PS1_EviiT4_lT5_lllS6_lllT6_lmli.num_vgpr, 25
	.set _ZL18rocblas_ger_kernelILi32ELi32ELi2ELb0E19rocblas_complex_numIfEPKS1_S3_PS1_EviiT4_lT5_lllS6_lllT6_lmli.num_agpr, 0
	.set _ZL18rocblas_ger_kernelILi32ELi32ELi2ELb0E19rocblas_complex_numIfEPKS1_S3_PS1_EviiT4_lT5_lllS6_lllT6_lmli.numbered_sgpr, 40
	.set _ZL18rocblas_ger_kernelILi32ELi32ELi2ELb0E19rocblas_complex_numIfEPKS1_S3_PS1_EviiT4_lT5_lllS6_lllT6_lmli.num_named_barrier, 0
	.set _ZL18rocblas_ger_kernelILi32ELi32ELi2ELb0E19rocblas_complex_numIfEPKS1_S3_PS1_EviiT4_lT5_lllS6_lllT6_lmli.private_seg_size, 0
	.set _ZL18rocblas_ger_kernelILi32ELi32ELi2ELb0E19rocblas_complex_numIfEPKS1_S3_PS1_EviiT4_lT5_lllS6_lllT6_lmli.uses_vcc, 1
	.set _ZL18rocblas_ger_kernelILi32ELi32ELi2ELb0E19rocblas_complex_numIfEPKS1_S3_PS1_EviiT4_lT5_lllS6_lllT6_lmli.uses_flat_scratch, 0
	.set _ZL18rocblas_ger_kernelILi32ELi32ELi2ELb0E19rocblas_complex_numIfEPKS1_S3_PS1_EviiT4_lT5_lllS6_lllT6_lmli.has_dyn_sized_stack, 0
	.set _ZL18rocblas_ger_kernelILi32ELi32ELi2ELb0E19rocblas_complex_numIfEPKS1_S3_PS1_EviiT4_lT5_lllS6_lllT6_lmli.has_recursion, 0
	.set _ZL18rocblas_ger_kernelILi32ELi32ELi2ELb0E19rocblas_complex_numIfEPKS1_S3_PS1_EviiT4_lT5_lllS6_lllT6_lmli.has_indirect_call, 0
	.section	.AMDGPU.csdata,"",@progbits
; Kernel info:
; codeLenInByte = 1232
; TotalNumSgprs: 42
; NumVgprs: 25
; ScratchSize: 0
; MemoryBound: 0
; FloatMode: 240
; IeeeMode: 1
; LDSByteSize: 768 bytes/workgroup (compile time only)
; SGPRBlocks: 0
; VGPRBlocks: 3
; NumSGPRsForWavesPerEU: 42
; NumVGPRsForWavesPerEU: 25
; Occupancy: 16
; WaveLimiterHint : 0
; COMPUTE_PGM_RSRC2:SCRATCH_EN: 0
; COMPUTE_PGM_RSRC2:USER_SGPR: 2
; COMPUTE_PGM_RSRC2:TRAP_HANDLER: 0
; COMPUTE_PGM_RSRC2:TGID_X_EN: 1
; COMPUTE_PGM_RSRC2:TGID_Y_EN: 0
; COMPUTE_PGM_RSRC2:TGID_Z_EN: 1
; COMPUTE_PGM_RSRC2:TIDIG_COMP_CNT: 1
	.section	.text._ZL18rocblas_ger_kernelILi32ELi32ELi2ELb0E19rocblas_complex_numIfES1_PKS1_PS1_EviiT4_lT5_lllS6_lllT6_lmli,"axG",@progbits,_ZL18rocblas_ger_kernelILi32ELi32ELi2ELb0E19rocblas_complex_numIfES1_PKS1_PS1_EviiT4_lT5_lllS6_lllT6_lmli,comdat
	.globl	_ZL18rocblas_ger_kernelILi32ELi32ELi2ELb0E19rocblas_complex_numIfES1_PKS1_PS1_EviiT4_lT5_lllS6_lllT6_lmli ; -- Begin function _ZL18rocblas_ger_kernelILi32ELi32ELi2ELb0E19rocblas_complex_numIfES1_PKS1_PS1_EviiT4_lT5_lllS6_lllT6_lmli
	.p2align	8
	.type	_ZL18rocblas_ger_kernelILi32ELi32ELi2ELb0E19rocblas_complex_numIfES1_PKS1_PS1_EviiT4_lT5_lllS6_lllT6_lmli,@function
_ZL18rocblas_ger_kernelILi32ELi32ELi2ELb0E19rocblas_complex_numIfES1_PKS1_PS1_EviiT4_lT5_lllS6_lllT6_lmli: ; @_ZL18rocblas_ger_kernelILi32ELi32ELi2ELb0E19rocblas_complex_numIfES1_PKS1_PS1_EviiT4_lT5_lllS6_lllT6_lmli
; %bb.0:
	s_load_b32 s33, s[0:1], 0x78
	s_lshr_b32 s28, ttmp7, 16
	s_wait_kmcnt 0x0
	s_cmp_ge_u32 s28, s33
	s_cbranch_scc1 .LBB20_18
; %bb.1:
	s_load_b128 s[4:7], s[0:1], 0x0
	v_and_b32_e32 v2, 0x3ff, v0
	s_wait_kmcnt 0x0
	s_add_co_i32 s2, s4, -1
	s_delay_alu instid0(SALU_CYCLE_1) | instskip(NEXT) | instid1(SALU_CYCLE_1)
	s_ashr_i32 s3, s2, 31
	s_lshr_b32 s3, s3, 27
	s_delay_alu instid0(SALU_CYCLE_1) | instskip(NEXT) | instid1(SALU_CYCLE_1)
	s_add_co_i32 s2, s2, s3
	s_ashr_i32 s29, s2, 5
	s_delay_alu instid0(SALU_CYCLE_1) | instskip(NEXT) | instid1(SALU_CYCLE_1)
	s_add_co_i32 s34, s29, 1
	s_cvt_f32_u32 s2, s34
	s_delay_alu instid0(SALU_CYCLE_3) | instskip(SKIP_3) | instid1(TRANS32_DEP_1)
	v_rcp_iflag_f32_e32 v1, s2
	s_clause 0x1
	s_load_b64 s[2:3], s[0:1], 0x18
	s_load_b256 s[8:15], s[0:1], 0x50
	v_readfirstlane_b32 s16, v1
	v_bfe_u32 v1, v0, 10, 10
	s_mul_f32 s30, s16, 0x4f7ffffe
	s_clause 0x1
	s_load_b256 s[16:23], s[0:1], 0x30
	s_load_b128 s[24:27], s[0:1], 0x20
	v_lshlrev_b32_e32 v0, 1, v1
	v_lshlrev_b32_e32 v6, 4, v1
	s_cvt_u32_f32 s35, s30
	s_load_b64 s[30:31], s[0:1], 0x70
	s_not_b32 s0, s29
	s_delay_alu instid0(SALU_CYCLE_1) | instskip(NEXT) | instid1(SALU_CYCLE_1)
	s_mul_i32 s0, s0, s35
	s_mul_hi_u32 s1, s35, s0
	v_cmp_eq_u32_e64 s0, 0, v1
	s_add_co_i32 s35, s35, s1
	s_delay_alu instid0(SALU_CYCLE_1) | instskip(NEXT) | instid1(SALU_CYCLE_1)
	s_mul_hi_u32 s29, ttmp9, s35
	s_mul_i32 s35, s29, s34
	s_add_co_i32 s36, s29, 1
	s_sub_co_i32 s35, ttmp9, s35
	s_delay_alu instid0(SALU_CYCLE_1)
	s_sub_co_i32 s37, s35, s34
	s_cmp_ge_u32 s35, s34
	s_cselect_b32 s29, s36, s29
	s_cselect_b32 s35, s37, s35
	s_add_co_i32 s36, s29, 1
	s_cmp_ge_u32 s35, s34
	s_cselect_b32 s29, s36, s29
	s_wait_kmcnt 0x0
	s_lshl_b64 s[12:13], s[12:13], 3
	v_lshl_add_u32 v1, s29, 6, v0
	s_lshl_b64 s[20:21], s[20:21], 3
	s_lshl_b64 s[24:25], s[24:25], 3
	s_mul_i32 s29, s29, s34
	s_add_nc_u64 s[10:11], s[10:11], s[12:13]
	v_or_b32_e32 v15, v1, v2
	s_add_nc_u64 s[12:13], s[18:19], s[20:21]
	s_add_nc_u64 s[18:19], s[2:3], s[24:25]
	s_wait_alu 0xfffe
	s_sub_co_i32 s2, ttmp9, s29
	v_ashrrev_i32_e32 v11, 31, v1
	v_mad_co_u64_u32 v[4:5], null, s22, v15, 0
	v_mul_lo_u32 v16, s15, v1
	v_or_b32_e32 v17, 1, v1
	s_delay_alu instid0(VALU_DEP_4) | instskip(SKIP_3) | instid1(VALU_DEP_4)
	v_mul_lo_u32 v19, s14, v11
	s_or_b32 s35, s6, s7
	s_mov_b32 s29, 0
	s_bitset0_b32 s35, 31
	v_mad_co_u64_u32 v[13:14], null, s23, v15, v[5:6]
	v_mul_lo_u32 v21, s15, v17
	v_mad_co_u64_u32 v[11:12], null, s14, v17, 0
	s_cmp_lg_u32 s35, 0
	v_mov_b32_e32 v5, v13
	v_lshlrev_b32_e32 v3, 3, v2
	s_wait_alu 0xfffe
	v_lshl_add_u32 v0, s2, 5, v2
	v_cmp_gt_u32_e64 s1, 2, v2
	v_cmp_gt_i32_e64 s2, s5, v1
	v_add3_u32 v12, v12, v19, v21
	v_add_nc_u32_e32 v7, 0x200, v3
	v_add_nc_u32_e32 v8, v6, v3
	v_mad_co_u64_u32 v[2:3], null, s14, v1, 0
	v_ashrrev_i32_e32 v1, 31, v0
	v_mul_lo_u32 v18, s27, v0
	v_mad_co_u64_u32 v[9:10], null, s26, v0, 0
	v_cmp_gt_i32_e64 s3, s4, v0
	s_delay_alu instid0(VALU_DEP_4)
	v_mul_lo_u32 v20, s26, v1
	v_lshlrev_b64_e32 v[0:1], 3, v[0:1]
	v_cmp_gt_u32_e64 s4, s5, v15
	v_add3_u32 v3, v3, v19, v16
	v_lshlrev_b64_e32 v[4:5], 3, v[4:5]
	v_cmp_gt_i32_e64 s5, s5, v17
	v_add3_u32 v10, v10, v20, v18
	s_delay_alu instid0(VALU_DEP_1) | instskip(SKIP_1) | instid1(VALU_DEP_1)
	v_lshlrev_b64_e32 v[14:15], 3, v[9:10]
	v_add_co_u32 v9, vcc_lo, s10, v0
	v_add_co_ci_u32_e64 v10, null, s11, v1, vcc_lo
	v_lshlrev_b64_e32 v[0:1], 3, v[2:3]
	v_lshlrev_b64_e32 v[2:3], 3, v[11:12]
	v_add_co_u32 v11, vcc_lo, s18, v14
	s_wait_alu 0xfffd
	v_add_co_ci_u32_e64 v12, null, s19, v15, vcc_lo
	v_add_co_u32 v13, vcc_lo, s12, v4
	s_wait_alu 0xfffd
	v_add_co_ci_u32_e64 v14, null, s13, v5, vcc_lo
	s_cselect_b32 s10, -1, 0
	s_branch .LBB20_4
.LBB20_2:                               ;   in Loop: Header=BB20_4 Depth=1
	s_wait_alu 0xfffe
	s_or_b32 exec_lo, exec_lo, s11
.LBB20_3:                               ;   in Loop: Header=BB20_4 Depth=1
	s_add_co_i32 s28, s28, 0x10000
	s_wait_alu 0xfffe
	s_cmp_lt_u32 s28, s33
	s_cbranch_scc0 .LBB20_18
.LBB20_4:                               ; =>This Inner Loop Header: Depth=1
	s_wait_alu 0xfffe
	s_and_not1_b32 vcc_lo, exec_lo, s10
	s_wait_alu 0xfffe
	s_cbranch_vccnz .LBB20_3
; %bb.5:                                ;   in Loop: Header=BB20_4 Depth=1
	s_and_saveexec_b32 s11, s0
	s_cbranch_execz .LBB20_9
; %bb.6:                                ;   in Loop: Header=BB20_4 Depth=1
	v_dual_mov_b32 v4, 0 :: v_dual_mov_b32 v5, 0
	s_and_saveexec_b32 s12, s3
	s_cbranch_execz .LBB20_8
; %bb.7:                                ;   in Loop: Header=BB20_4 Depth=1
	s_mul_u64 s[14:15], s[16:17], s[28:29]
	s_wait_alu 0xfffe
	s_lshl_b64 s[14:15], s[14:15], 3
	s_wait_alu 0xfffe
	v_add_co_u32 v4, vcc_lo, v11, s14
	s_wait_alu 0xfffd
	v_add_co_ci_u32_e64 v5, null, s15, v12, vcc_lo
	global_load_b64 v[4:5], v[4:5], off
.LBB20_8:                               ;   in Loop: Header=BB20_4 Depth=1
	s_wait_alu 0xfffe
	s_or_b32 exec_lo, exec_lo, s12
	s_wait_loadcnt 0x0
	ds_store_b64 v7, v[4:5]
.LBB20_9:                               ;   in Loop: Header=BB20_4 Depth=1
	s_wait_alu 0xfffe
	s_or_b32 exec_lo, exec_lo, s11
	s_and_saveexec_b32 s11, s1
	s_cbranch_execz .LBB20_13
; %bb.10:                               ;   in Loop: Header=BB20_4 Depth=1
	v_dual_mov_b32 v4, 0 :: v_dual_mov_b32 v5, 0
	s_and_saveexec_b32 s12, s4
	s_cbranch_execz .LBB20_12
; %bb.11:                               ;   in Loop: Header=BB20_4 Depth=1
	s_mul_u64 s[14:15], s[8:9], s[28:29]
	s_wait_alu 0xfffe
	s_lshl_b64 s[14:15], s[14:15], 3
	s_wait_alu 0xfffe
	v_add_co_u32 v4, vcc_lo, v13, s14
	s_wait_alu 0xfffd
	v_add_co_ci_u32_e64 v5, null, s15, v14, vcc_lo
	global_load_b64 v[4:5], v[4:5], off
.LBB20_12:                              ;   in Loop: Header=BB20_4 Depth=1
	s_wait_alu 0xfffe
	s_or_b32 exec_lo, exec_lo, s12
	s_wait_loadcnt 0x0
	ds_store_b64 v8, v[4:5]
.LBB20_13:                              ;   in Loop: Header=BB20_4 Depth=1
	s_wait_alu 0xfffe
	s_or_b32 exec_lo, exec_lo, s11
	s_wait_dscnt 0x0
	s_barrier_signal -1
	s_barrier_wait -1
	global_inv scope:SCOPE_SE
	s_and_saveexec_b32 s11, s3
	s_cbranch_execz .LBB20_2
; %bb.14:                               ;   in Loop: Header=BB20_4 Depth=1
	ds_load_b64 v[15:16], v7
	s_mul_u64 s[12:13], s[30:31], s[28:29]
	s_wait_alu 0xfffe
	s_lshl_b64 s[12:13], s[12:13], 3
	s_wait_dscnt 0x0
	v_mul_f32_e32 v4, s6, v16
	s_delay_alu instid0(VALU_DEP_1) | instskip(NEXT) | instid1(VALU_DEP_1)
	v_dual_mul_f32 v5, s7, v16 :: v_dual_fmac_f32 v4, s7, v15
	v_fma_f32 v5, v15, s6, -v5
	s_wait_alu 0xfffe
	v_add_co_u32 v15, vcc_lo, v9, s12
	s_wait_alu 0xfffd
	v_add_co_ci_u32_e64 v16, null, s13, v10, vcc_lo
	s_and_saveexec_b32 s12, s2
	s_cbranch_execz .LBB20_16
; %bb.15:                               ;   in Loop: Header=BB20_4 Depth=1
	v_add_co_u32 v17, vcc_lo, v15, v0
	s_wait_alu 0xfffd
	v_add_co_ci_u32_e64 v18, null, v16, v1, vcc_lo
	ds_load_b64 v[21:22], v6
	global_load_b64 v[19:20], v[17:18], off
	s_wait_dscnt 0x0
	v_mul_f32_e32 v23, v4, v22
	v_mul_f32_e32 v22, v5, v22
	s_delay_alu instid0(VALU_DEP_1) | instskip(SKIP_1) | instid1(VALU_DEP_1)
	v_fmac_f32_e32 v22, v4, v21
	s_wait_loadcnt 0x0
	v_add_f32_e32 v20, v22, v20
	v_fma_f32 v23, v5, v21, -v23
	s_delay_alu instid0(VALU_DEP_1)
	v_add_f32_e32 v19, v19, v23
	global_store_b64 v[17:18], v[19:20], off
.LBB20_16:                              ;   in Loop: Header=BB20_4 Depth=1
	s_wait_alu 0xfffe
	s_or_b32 exec_lo, exec_lo, s12
	s_delay_alu instid0(SALU_CYCLE_1)
	s_and_b32 exec_lo, exec_lo, s5
	s_cbranch_execz .LBB20_2
; %bb.17:                               ;   in Loop: Header=BB20_4 Depth=1
	v_add_co_u32 v15, vcc_lo, v15, v2
	s_wait_alu 0xfffd
	v_add_co_ci_u32_e64 v16, null, v16, v3, vcc_lo
	ds_load_b64 v[19:20], v6 offset:8
	global_load_b64 v[17:18], v[15:16], off
	s_wait_dscnt 0x0
	v_mul_f32_e32 v21, v4, v20
	v_mul_f32_e32 v20, v5, v20
	s_delay_alu instid0(VALU_DEP_2) | instskip(NEXT) | instid1(VALU_DEP_2)
	v_fma_f32 v5, v5, v19, -v21
	v_fmac_f32_e32 v20, v4, v19
	s_wait_loadcnt 0x0
	s_delay_alu instid0(VALU_DEP_1)
	v_dual_add_f32 v4, v17, v5 :: v_dual_add_f32 v5, v20, v18
	global_store_b64 v[15:16], v[4:5], off
	s_branch .LBB20_2
.LBB20_18:
	s_endpgm
	.section	.rodata,"a",@progbits
	.p2align	6, 0x0
	.amdhsa_kernel _ZL18rocblas_ger_kernelILi32ELi32ELi2ELb0E19rocblas_complex_numIfES1_PKS1_PS1_EviiT4_lT5_lllS6_lllT6_lmli
		.amdhsa_group_segment_fixed_size 768
		.amdhsa_private_segment_fixed_size 0
		.amdhsa_kernarg_size 124
		.amdhsa_user_sgpr_count 2
		.amdhsa_user_sgpr_dispatch_ptr 0
		.amdhsa_user_sgpr_queue_ptr 0
		.amdhsa_user_sgpr_kernarg_segment_ptr 1
		.amdhsa_user_sgpr_dispatch_id 0
		.amdhsa_user_sgpr_private_segment_size 0
		.amdhsa_wavefront_size32 1
		.amdhsa_uses_dynamic_stack 0
		.amdhsa_enable_private_segment 0
		.amdhsa_system_sgpr_workgroup_id_x 1
		.amdhsa_system_sgpr_workgroup_id_y 0
		.amdhsa_system_sgpr_workgroup_id_z 1
		.amdhsa_system_sgpr_workgroup_info 0
		.amdhsa_system_vgpr_workitem_id 1
		.amdhsa_next_free_vgpr 24
		.amdhsa_next_free_sgpr 38
		.amdhsa_reserve_vcc 1
		.amdhsa_float_round_mode_32 0
		.amdhsa_float_round_mode_16_64 0
		.amdhsa_float_denorm_mode_32 3
		.amdhsa_float_denorm_mode_16_64 3
		.amdhsa_fp16_overflow 0
		.amdhsa_workgroup_processor_mode 1
		.amdhsa_memory_ordered 1
		.amdhsa_forward_progress 1
		.amdhsa_inst_pref_size 10
		.amdhsa_round_robin_scheduling 0
		.amdhsa_exception_fp_ieee_invalid_op 0
		.amdhsa_exception_fp_denorm_src 0
		.amdhsa_exception_fp_ieee_div_zero 0
		.amdhsa_exception_fp_ieee_overflow 0
		.amdhsa_exception_fp_ieee_underflow 0
		.amdhsa_exception_fp_ieee_inexact 0
		.amdhsa_exception_int_div_zero 0
	.end_amdhsa_kernel
	.section	.text._ZL18rocblas_ger_kernelILi32ELi32ELi2ELb0E19rocblas_complex_numIfES1_PKS1_PS1_EviiT4_lT5_lllS6_lllT6_lmli,"axG",@progbits,_ZL18rocblas_ger_kernelILi32ELi32ELi2ELb0E19rocblas_complex_numIfES1_PKS1_PS1_EviiT4_lT5_lllS6_lllT6_lmli,comdat
.Lfunc_end20:
	.size	_ZL18rocblas_ger_kernelILi32ELi32ELi2ELb0E19rocblas_complex_numIfES1_PKS1_PS1_EviiT4_lT5_lllS6_lllT6_lmli, .Lfunc_end20-_ZL18rocblas_ger_kernelILi32ELi32ELi2ELb0E19rocblas_complex_numIfES1_PKS1_PS1_EviiT4_lT5_lllS6_lllT6_lmli
                                        ; -- End function
	.set _ZL18rocblas_ger_kernelILi32ELi32ELi2ELb0E19rocblas_complex_numIfES1_PKS1_PS1_EviiT4_lT5_lllS6_lllT6_lmli.num_vgpr, 24
	.set _ZL18rocblas_ger_kernelILi32ELi32ELi2ELb0E19rocblas_complex_numIfES1_PKS1_PS1_EviiT4_lT5_lllS6_lllT6_lmli.num_agpr, 0
	.set _ZL18rocblas_ger_kernelILi32ELi32ELi2ELb0E19rocblas_complex_numIfES1_PKS1_PS1_EviiT4_lT5_lllS6_lllT6_lmli.numbered_sgpr, 38
	.set _ZL18rocblas_ger_kernelILi32ELi32ELi2ELb0E19rocblas_complex_numIfES1_PKS1_PS1_EviiT4_lT5_lllS6_lllT6_lmli.num_named_barrier, 0
	.set _ZL18rocblas_ger_kernelILi32ELi32ELi2ELb0E19rocblas_complex_numIfES1_PKS1_PS1_EviiT4_lT5_lllS6_lllT6_lmli.private_seg_size, 0
	.set _ZL18rocblas_ger_kernelILi32ELi32ELi2ELb0E19rocblas_complex_numIfES1_PKS1_PS1_EviiT4_lT5_lllS6_lllT6_lmli.uses_vcc, 1
	.set _ZL18rocblas_ger_kernelILi32ELi32ELi2ELb0E19rocblas_complex_numIfES1_PKS1_PS1_EviiT4_lT5_lllS6_lllT6_lmli.uses_flat_scratch, 0
	.set _ZL18rocblas_ger_kernelILi32ELi32ELi2ELb0E19rocblas_complex_numIfES1_PKS1_PS1_EviiT4_lT5_lllS6_lllT6_lmli.has_dyn_sized_stack, 0
	.set _ZL18rocblas_ger_kernelILi32ELi32ELi2ELb0E19rocblas_complex_numIfES1_PKS1_PS1_EviiT4_lT5_lllS6_lllT6_lmli.has_recursion, 0
	.set _ZL18rocblas_ger_kernelILi32ELi32ELi2ELb0E19rocblas_complex_numIfES1_PKS1_PS1_EviiT4_lT5_lllS6_lllT6_lmli.has_indirect_call, 0
	.section	.AMDGPU.csdata,"",@progbits
; Kernel info:
; codeLenInByte = 1180
; TotalNumSgprs: 40
; NumVgprs: 24
; ScratchSize: 0
; MemoryBound: 0
; FloatMode: 240
; IeeeMode: 1
; LDSByteSize: 768 bytes/workgroup (compile time only)
; SGPRBlocks: 0
; VGPRBlocks: 2
; NumSGPRsForWavesPerEU: 40
; NumVGPRsForWavesPerEU: 24
; Occupancy: 16
; WaveLimiterHint : 1
; COMPUTE_PGM_RSRC2:SCRATCH_EN: 0
; COMPUTE_PGM_RSRC2:USER_SGPR: 2
; COMPUTE_PGM_RSRC2:TRAP_HANDLER: 0
; COMPUTE_PGM_RSRC2:TGID_X_EN: 1
; COMPUTE_PGM_RSRC2:TGID_Y_EN: 0
; COMPUTE_PGM_RSRC2:TGID_Z_EN: 1
; COMPUTE_PGM_RSRC2:TIDIG_COMP_CNT: 1
	.section	.text._ZL34rocblas_ger_double_buffered_kernelILb0ELi64ELi16ELi2E19rocblas_complex_numIdE24rocblas_internal_val_ptrIS1_EPKS1_PS1_EvbiiT4_lT5_lllS8_lllT6_lmli,"axG",@progbits,_ZL34rocblas_ger_double_buffered_kernelILb0ELi64ELi16ELi2E19rocblas_complex_numIdE24rocblas_internal_val_ptrIS1_EPKS1_PS1_EvbiiT4_lT5_lllS8_lllT6_lmli,comdat
	.globl	_ZL34rocblas_ger_double_buffered_kernelILb0ELi64ELi16ELi2E19rocblas_complex_numIdE24rocblas_internal_val_ptrIS1_EPKS1_PS1_EvbiiT4_lT5_lllS8_lllT6_lmli ; -- Begin function _ZL34rocblas_ger_double_buffered_kernelILb0ELi64ELi16ELi2E19rocblas_complex_numIdE24rocblas_internal_val_ptrIS1_EPKS1_PS1_EvbiiT4_lT5_lllS8_lllT6_lmli
	.p2align	8
	.type	_ZL34rocblas_ger_double_buffered_kernelILb0ELi64ELi16ELi2E19rocblas_complex_numIdE24rocblas_internal_val_ptrIS1_EPKS1_PS1_EvbiiT4_lT5_lllS8_lllT6_lmli,@function
_ZL34rocblas_ger_double_buffered_kernelILb0ELi64ELi16ELi2E19rocblas_complex_numIdE24rocblas_internal_val_ptrIS1_EPKS1_PS1_EvbiiT4_lT5_lllS8_lllT6_lmli: ; @_ZL34rocblas_ger_double_buffered_kernelILb0ELi64ELi16ELi2E19rocblas_complex_numIdE24rocblas_internal_val_ptrIS1_EPKS1_PS1_EvbiiT4_lT5_lllS8_lllT6_lmli
; %bb.0:
	s_load_b32 s33, s[0:1], 0x88
	s_lshr_b32 s2, ttmp7, 16
	s_wait_kmcnt 0x0
	s_cmp_ge_u32 s2, s33
	s_cbranch_scc1 .LBB21_7
; %bb.1:
	v_lshrrev_b32_e32 v1, 4, v0
	v_and_b32_e32 v2, 0x3ff, v0
	s_clause 0x2
	s_load_b256 s[4:11], s[0:1], 0x60
	s_load_b256 s[12:19], s[0:1], 0x20
	s_load_b256 s[20:27], s[0:1], 0x40
	v_and_b32_e32 v14, 31, v0
	s_load_b32 s36, s[0:1], 0x0
	v_and_b32_e32 v1, 0xffc0, v1
	s_clause 0x1
	s_load_b128 s[28:31], s[0:1], 0x10
	s_load_b64 s[34:35], s[0:1], 0x80
	s_mov_b32 s3, 0
	v_or_b32_e32 v16, 32, v14
	s_mov_b32 s1, s3
	v_add_nc_u32_e32 v1, v1, v2
	s_delay_alu instid0(VALU_DEP_1) | instskip(NEXT) | instid1(VALU_DEP_1)
	v_lshrrev_b32_e32 v9, 4, v1
	v_and_b32_e32 v15, 0x1ffe, v9
	s_wait_kmcnt 0x0
	v_mad_co_u64_u32 v[2:3], null, s18, v14, 0
	v_mad_co_u64_u32 v[4:5], null, s18, v16, 0
	s_delay_alu instid0(VALU_DEP_3)
	v_mad_co_u64_u32 v[0:1], null, s10, v15, 0
	v_mad_co_u64_u32 v[10:11], null, s26, v15, 0
	s_bitcmp1_b32 s36, 0
	s_cselect_b32 s38, -1, 0
	s_lshl_b32 s36, ttmp9, 6
	v_mad_co_u64_u32 v[6:7], null, s11, v15, v[1:2]
	v_mad_co_u64_u32 v[7:8], null, s19, v14, v[3:4]
	v_or_b32_e32 v8, 1, v9
	s_lshl_b64 s[8:9], s[8:9], 4
	s_lshl_b64 s[16:17], s[16:17], 4
	s_and_b32 s0, ttmp7, 0xffff
	s_delay_alu instid0(VALU_DEP_3)
	v_mov_b32_e32 v1, v6
	v_mad_co_u64_u32 v[12:13], null, s26, v8, 0
	v_mad_co_u64_u32 v[5:6], null, s19, v16, v[5:6]
	v_dual_mov_b32 v3, v7 :: v_dual_mov_b32 v6, v11
	s_ashr_i32 s37, s36, 31
	s_add_nc_u64 s[6:7], s[6:7], s[8:9]
	s_delay_alu instid0(VALU_DEP_3)
	v_mov_b32_e32 v7, v13
	s_add_nc_u64 s[14:15], s[14:15], s[16:17]
	s_lshl_b64 s[16:17], s[36:37], 4
	s_lshl_b32 s0, s0, 6
	s_add_nc_u64 s[6:7], s[6:7], s[16:17]
	s_mul_u64 s[16:17], s[10:11], s[0:1]
	v_lshlrev_b64_e32 v[0:1], 4, v[0:1]
	v_lshlrev_b32_e32 v9, 4, v14
	v_mad_co_u64_u32 v[13:14], null, s27, v15, v[6:7]
	v_mad_co_u64_u32 v[6:7], null, s27, v8, v[7:8]
	s_lshl_b64 s[16:17], s[16:17], 4
	s_lshl_b64 s[24:25], s[24:25], 4
	s_add_nc_u64 s[6:7], s[6:7], s[16:17]
	s_add_nc_u64 s[8:9], s[22:23], s[24:25]
	s_mul_u64 s[22:23], s[18:19], s[36:37]
	s_mul_u64 s[0:1], s[26:27], s[0:1]
	v_add_co_u32 v0, vcc_lo, s6, v0
	s_lshl_b64 s[16:17], s[22:23], 4
	s_lshl_b64 s[22:23], s[0:1], 4
	s_xor_b32 s0, s38, -1
	v_add_co_ci_u32_e64 v1, null, s7, v1, vcc_lo
	v_mov_b32_e32 v11, v13
	v_mov_b32_e32 v13, v6
	v_cndmask_b32_e64 v14, 0, 1, s0
	v_add_co_u32 v8, vcc_lo, v0, v9
	s_wait_alu 0xfffd
	v_add_co_ci_u32_e64 v9, null, 0, v1, vcc_lo
	v_lshlrev_b64_e32 v[0:1], 4, v[2:3]
	v_lshlrev_b64_e32 v[2:3], 4, v[4:5]
	;; [unrolled: 1-line block ×4, first 2 shown]
	v_cmp_ne_u32_e64 s0, 1, v14
	s_add_nc_u64 s[6:7], s[14:15], s[16:17]
	s_add_nc_u64 s[14:15], s[8:9], s[22:23]
	s_lshl_b64 s[16:17], s[10:11], 4
	s_branch .LBB21_3
.LBB21_2:                               ;   in Loop: Header=BB21_3 Depth=1
	s_add_co_i32 s2, s2, 0x10000
	s_delay_alu instid0(SALU_CYCLE_1)
	s_cmp_lt_u32 s2, s33
	s_cbranch_scc0 .LBB21_7
.LBB21_3:                               ; =>This Inner Loop Header: Depth=1
	s_and_b32 vcc_lo, exec_lo, s0
	s_mov_b64 s[8:9], s[28:29]
	s_mov_b64 s[10:11], s[30:31]
	s_wait_alu 0xfffe
	s_cbranch_vccnz .LBB21_5
; %bb.4:                                ;   in Loop: Header=BB21_3 Depth=1
	s_mul_u64 s[8:9], s[12:13], s[2:3]
	s_wait_alu 0xfffe
	s_lshl_b64 s[8:9], s[8:9], 4
	s_wait_alu 0xfffe
	s_add_nc_u64 s[8:9], s[28:29], s[8:9]
	s_load_b128 s[8:11], s[8:9], 0x0
.LBB21_5:                               ;   in Loop: Header=BB21_3 Depth=1
	s_wait_kmcnt 0x0
	v_cmp_neq_f64_e64 s1, s[8:9], 0
	v_cmp_neq_f64_e64 s18, s[10:11], 0
	s_or_b32 s1, s1, s18
	s_wait_alu 0xfffe
	s_and_not1_b32 vcc_lo, exec_lo, s1
	s_wait_alu 0xfffe
	s_cbranch_vccnz .LBB21_2
; %bb.6:                                ;   in Loop: Header=BB21_3 Depth=1
	s_mul_u64 s[18:19], s[20:21], s[2:3]
	s_wait_alu 0xfffe
	s_lshl_b64 s[18:19], s[18:19], 4
	s_wait_alu 0xfffe
	s_add_nc_u64 s[18:19], s[6:7], s[18:19]
	s_wait_alu 0xfffe
	v_add_co_u32 v10, vcc_lo, s18, v0
	s_wait_alu 0xfffd
	v_add_co_ci_u32_e64 v11, null, s19, v1, vcc_lo
	v_add_co_u32 v14, vcc_lo, s18, v2
	s_wait_alu 0xfffd
	v_add_co_ci_u32_e64 v15, null, s19, v3, vcc_lo
	s_clause 0x1
	global_load_b128 v[10:13], v[10:11], off
	global_load_b128 v[14:17], v[14:15], off
	s_mul_u64 s[18:19], s[4:5], s[2:3]
	s_wait_alu 0xfffe
	s_lshl_b64 s[18:19], s[18:19], 4
	s_wait_alu 0xfffe
	s_add_nc_u64 s[18:19], s[14:15], s[18:19]
	s_wait_alu 0xfffe
	v_add_co_u32 v18, vcc_lo, s18, v4
	s_wait_alu 0xfffd
	v_add_co_ci_u32_e64 v19, null, s19, v5, vcc_lo
	v_add_co_u32 v22, vcc_lo, s18, v6
	s_wait_alu 0xfffd
	v_add_co_ci_u32_e64 v23, null, s19, v7, vcc_lo
	s_clause 0x1
	global_load_b128 v[18:21], v[18:19], off
	global_load_b128 v[22:25], v[22:23], off
	s_mul_u64 s[18:19], s[34:35], s[2:3]
	s_wait_alu 0xfffe
	s_lshl_b64 s[18:19], s[18:19], 4
	s_wait_alu 0xfffe
	v_add_co_u32 v42, vcc_lo, v8, s18
	s_wait_alu 0xfffd
	v_add_co_ci_u32_e64 v43, null, s19, v9, vcc_lo
	s_delay_alu instid0(VALU_DEP_2) | instskip(SKIP_1) | instid1(VALU_DEP_2)
	v_add_co_u32 v44, vcc_lo, v42, s16
	s_wait_alu 0xfffd
	v_add_co_ci_u32_e64 v45, null, s17, v43, vcc_lo
	s_clause 0x3
	global_load_b128 v[26:29], v[42:43], off
	global_load_b128 v[30:33], v[44:45], off
	global_load_b128 v[34:37], v[42:43], off offset:512
	global_load_b128 v[38:41], v[44:45], off offset:512
	s_wait_loadcnt 0x7
	v_mul_f64_e32 v[46:47], s[8:9], v[12:13]
	v_mul_f64_e32 v[12:13], s[10:11], v[12:13]
	s_wait_loadcnt 0x6
	v_mul_f64_e32 v[48:49], s[8:9], v[16:17]
	v_mul_f64_e32 v[16:17], s[10:11], v[16:17]
	s_delay_alu instid0(VALU_DEP_4) | instskip(NEXT) | instid1(VALU_DEP_4)
	v_fma_f64 v[46:47], s[10:11], v[10:11], v[46:47]
	v_fma_f64 v[10:11], s[8:9], v[10:11], -v[12:13]
	s_delay_alu instid0(VALU_DEP_4) | instskip(NEXT) | instid1(VALU_DEP_4)
	v_fma_f64 v[12:13], s[10:11], v[14:15], v[48:49]
	v_fma_f64 v[14:15], s[8:9], v[14:15], -v[16:17]
	s_wait_loadcnt 0x5
	s_delay_alu instid0(VALU_DEP_4) | instskip(NEXT) | instid1(VALU_DEP_4)
	v_mul_f64_e32 v[16:17], v[46:47], v[20:21]
	v_mul_f64_e32 v[48:49], v[10:11], v[20:21]
	s_wait_loadcnt 0x4
	v_mul_f64_e32 v[50:51], v[46:47], v[24:25]
	v_mul_f64_e32 v[52:53], v[10:11], v[24:25]
	;; [unrolled: 1-line block ×6, first 2 shown]
	v_fma_f64 v[16:17], v[10:11], v[18:19], -v[16:17]
	v_fma_f64 v[48:49], v[46:47], v[18:19], v[48:49]
	v_fma_f64 v[50:51], v[10:11], v[22:23], -v[50:51]
	v_fma_f64 v[46:47], v[46:47], v[22:23], v[52:53]
	;; [unrolled: 2-line block ×4, first 2 shown]
	s_wait_loadcnt 0x3
	v_add_f64_e32 v[10:11], v[26:27], v[16:17]
	v_add_f64_e32 v[12:13], v[48:49], v[28:29]
	s_wait_loadcnt 0x2
	v_add_f64_e32 v[14:15], v[30:31], v[50:51]
	v_add_f64_e32 v[16:17], v[46:47], v[32:33]
	;; [unrolled: 3-line block ×4, first 2 shown]
	s_clause 0x3
	global_store_b128 v[42:43], v[10:13], off
	global_store_b128 v[44:45], v[14:17], off
	global_store_b128 v[42:43], v[18:21], off offset:512
	global_store_b128 v[44:45], v[22:25], off offset:512
	s_branch .LBB21_2
.LBB21_7:
	s_endpgm
	.section	.rodata,"a",@progbits
	.p2align	6, 0x0
	.amdhsa_kernel _ZL34rocblas_ger_double_buffered_kernelILb0ELi64ELi16ELi2E19rocblas_complex_numIdE24rocblas_internal_val_ptrIS1_EPKS1_PS1_EvbiiT4_lT5_lllS8_lllT6_lmli
		.amdhsa_group_segment_fixed_size 0
		.amdhsa_private_segment_fixed_size 0
		.amdhsa_kernarg_size 140
		.amdhsa_user_sgpr_count 2
		.amdhsa_user_sgpr_dispatch_ptr 0
		.amdhsa_user_sgpr_queue_ptr 0
		.amdhsa_user_sgpr_kernarg_segment_ptr 1
		.amdhsa_user_sgpr_dispatch_id 0
		.amdhsa_user_sgpr_private_segment_size 0
		.amdhsa_wavefront_size32 1
		.amdhsa_uses_dynamic_stack 0
		.amdhsa_enable_private_segment 0
		.amdhsa_system_sgpr_workgroup_id_x 1
		.amdhsa_system_sgpr_workgroup_id_y 1
		.amdhsa_system_sgpr_workgroup_id_z 1
		.amdhsa_system_sgpr_workgroup_info 0
		.amdhsa_system_vgpr_workitem_id 1
		.amdhsa_next_free_vgpr 58
		.amdhsa_next_free_sgpr 39
		.amdhsa_reserve_vcc 1
		.amdhsa_float_round_mode_32 0
		.amdhsa_float_round_mode_16_64 0
		.amdhsa_float_denorm_mode_32 3
		.amdhsa_float_denorm_mode_16_64 3
		.amdhsa_fp16_overflow 0
		.amdhsa_workgroup_processor_mode 1
		.amdhsa_memory_ordered 1
		.amdhsa_forward_progress 1
		.amdhsa_inst_pref_size 9
		.amdhsa_round_robin_scheduling 0
		.amdhsa_exception_fp_ieee_invalid_op 0
		.amdhsa_exception_fp_denorm_src 0
		.amdhsa_exception_fp_ieee_div_zero 0
		.amdhsa_exception_fp_ieee_overflow 0
		.amdhsa_exception_fp_ieee_underflow 0
		.amdhsa_exception_fp_ieee_inexact 0
		.amdhsa_exception_int_div_zero 0
	.end_amdhsa_kernel
	.section	.text._ZL34rocblas_ger_double_buffered_kernelILb0ELi64ELi16ELi2E19rocblas_complex_numIdE24rocblas_internal_val_ptrIS1_EPKS1_PS1_EvbiiT4_lT5_lllS8_lllT6_lmli,"axG",@progbits,_ZL34rocblas_ger_double_buffered_kernelILb0ELi64ELi16ELi2E19rocblas_complex_numIdE24rocblas_internal_val_ptrIS1_EPKS1_PS1_EvbiiT4_lT5_lllS8_lllT6_lmli,comdat
.Lfunc_end21:
	.size	_ZL34rocblas_ger_double_buffered_kernelILb0ELi64ELi16ELi2E19rocblas_complex_numIdE24rocblas_internal_val_ptrIS1_EPKS1_PS1_EvbiiT4_lT5_lllS8_lllT6_lmli, .Lfunc_end21-_ZL34rocblas_ger_double_buffered_kernelILb0ELi64ELi16ELi2E19rocblas_complex_numIdE24rocblas_internal_val_ptrIS1_EPKS1_PS1_EvbiiT4_lT5_lllS8_lllT6_lmli
                                        ; -- End function
	.set _ZL34rocblas_ger_double_buffered_kernelILb0ELi64ELi16ELi2E19rocblas_complex_numIdE24rocblas_internal_val_ptrIS1_EPKS1_PS1_EvbiiT4_lT5_lllS8_lllT6_lmli.num_vgpr, 58
	.set _ZL34rocblas_ger_double_buffered_kernelILb0ELi64ELi16ELi2E19rocblas_complex_numIdE24rocblas_internal_val_ptrIS1_EPKS1_PS1_EvbiiT4_lT5_lllS8_lllT6_lmli.num_agpr, 0
	.set _ZL34rocblas_ger_double_buffered_kernelILb0ELi64ELi16ELi2E19rocblas_complex_numIdE24rocblas_internal_val_ptrIS1_EPKS1_PS1_EvbiiT4_lT5_lllS8_lllT6_lmli.numbered_sgpr, 39
	.set _ZL34rocblas_ger_double_buffered_kernelILb0ELi64ELi16ELi2E19rocblas_complex_numIdE24rocblas_internal_val_ptrIS1_EPKS1_PS1_EvbiiT4_lT5_lllS8_lllT6_lmli.num_named_barrier, 0
	.set _ZL34rocblas_ger_double_buffered_kernelILb0ELi64ELi16ELi2E19rocblas_complex_numIdE24rocblas_internal_val_ptrIS1_EPKS1_PS1_EvbiiT4_lT5_lllS8_lllT6_lmli.private_seg_size, 0
	.set _ZL34rocblas_ger_double_buffered_kernelILb0ELi64ELi16ELi2E19rocblas_complex_numIdE24rocblas_internal_val_ptrIS1_EPKS1_PS1_EvbiiT4_lT5_lllS8_lllT6_lmli.uses_vcc, 1
	.set _ZL34rocblas_ger_double_buffered_kernelILb0ELi64ELi16ELi2E19rocblas_complex_numIdE24rocblas_internal_val_ptrIS1_EPKS1_PS1_EvbiiT4_lT5_lllS8_lllT6_lmli.uses_flat_scratch, 0
	.set _ZL34rocblas_ger_double_buffered_kernelILb0ELi64ELi16ELi2E19rocblas_complex_numIdE24rocblas_internal_val_ptrIS1_EPKS1_PS1_EvbiiT4_lT5_lllS8_lllT6_lmli.has_dyn_sized_stack, 0
	.set _ZL34rocblas_ger_double_buffered_kernelILb0ELi64ELi16ELi2E19rocblas_complex_numIdE24rocblas_internal_val_ptrIS1_EPKS1_PS1_EvbiiT4_lT5_lllS8_lllT6_lmli.has_recursion, 0
	.set _ZL34rocblas_ger_double_buffered_kernelILb0ELi64ELi16ELi2E19rocblas_complex_numIdE24rocblas_internal_val_ptrIS1_EPKS1_PS1_EvbiiT4_lT5_lllS8_lllT6_lmli.has_indirect_call, 0
	.section	.AMDGPU.csdata,"",@progbits
; Kernel info:
; codeLenInByte = 1128
; TotalNumSgprs: 41
; NumVgprs: 58
; ScratchSize: 0
; MemoryBound: 1
; FloatMode: 240
; IeeeMode: 1
; LDSByteSize: 0 bytes/workgroup (compile time only)
; SGPRBlocks: 0
; VGPRBlocks: 7
; NumSGPRsForWavesPerEU: 41
; NumVGPRsForWavesPerEU: 58
; Occupancy: 16
; WaveLimiterHint : 0
; COMPUTE_PGM_RSRC2:SCRATCH_EN: 0
; COMPUTE_PGM_RSRC2:USER_SGPR: 2
; COMPUTE_PGM_RSRC2:TRAP_HANDLER: 0
; COMPUTE_PGM_RSRC2:TGID_X_EN: 1
; COMPUTE_PGM_RSRC2:TGID_Y_EN: 1
; COMPUTE_PGM_RSRC2:TGID_Z_EN: 1
; COMPUTE_PGM_RSRC2:TIDIG_COMP_CNT: 1
	.section	.text._ZL26rocblas_sger_gfx942_kernelILi256E19rocblas_complex_numIdEPKS1_S3_PS1_EviiT1_lT2_lllS6_lllT3_lll,"axG",@progbits,_ZL26rocblas_sger_gfx942_kernelILi256E19rocblas_complex_numIdEPKS1_S3_PS1_EviiT1_lT2_lllS6_lllT3_lll,comdat
	.globl	_ZL26rocblas_sger_gfx942_kernelILi256E19rocblas_complex_numIdEPKS1_S3_PS1_EviiT1_lT2_lllS6_lllT3_lll ; -- Begin function _ZL26rocblas_sger_gfx942_kernelILi256E19rocblas_complex_numIdEPKS1_S3_PS1_EviiT1_lT2_lllS6_lllT3_lll
	.p2align	8
	.type	_ZL26rocblas_sger_gfx942_kernelILi256E19rocblas_complex_numIdEPKS1_S3_PS1_EviiT1_lT2_lllS6_lllT3_lll,@function
_ZL26rocblas_sger_gfx942_kernelILi256E19rocblas_complex_numIdEPKS1_S3_PS1_EviiT1_lT2_lllS6_lllT3_lll: ; @_ZL26rocblas_sger_gfx942_kernelILi256E19rocblas_complex_numIdEPKS1_S3_PS1_EviiT1_lT2_lllS6_lllT3_lll
; %bb.0:
	s_endpgm
	.section	.rodata,"a",@progbits
	.p2align	6, 0x0
	.amdhsa_kernel _ZL26rocblas_sger_gfx942_kernelILi256E19rocblas_complex_numIdEPKS1_S3_PS1_EviiT1_lT2_lllS6_lllT3_lll
		.amdhsa_group_segment_fixed_size 0
		.amdhsa_private_segment_fixed_size 0
		.amdhsa_kernarg_size 120
		.amdhsa_user_sgpr_count 2
		.amdhsa_user_sgpr_dispatch_ptr 0
		.amdhsa_user_sgpr_queue_ptr 0
		.amdhsa_user_sgpr_kernarg_segment_ptr 1
		.amdhsa_user_sgpr_dispatch_id 0
		.amdhsa_user_sgpr_private_segment_size 0
		.amdhsa_wavefront_size32 1
		.amdhsa_uses_dynamic_stack 0
		.amdhsa_enable_private_segment 0
		.amdhsa_system_sgpr_workgroup_id_x 1
		.amdhsa_system_sgpr_workgroup_id_y 0
		.amdhsa_system_sgpr_workgroup_id_z 0
		.amdhsa_system_sgpr_workgroup_info 0
		.amdhsa_system_vgpr_workitem_id 0
		.amdhsa_next_free_vgpr 1
		.amdhsa_next_free_sgpr 1
		.amdhsa_reserve_vcc 0
		.amdhsa_float_round_mode_32 0
		.amdhsa_float_round_mode_16_64 0
		.amdhsa_float_denorm_mode_32 3
		.amdhsa_float_denorm_mode_16_64 3
		.amdhsa_fp16_overflow 0
		.amdhsa_workgroup_processor_mode 1
		.amdhsa_memory_ordered 1
		.amdhsa_forward_progress 1
		.amdhsa_inst_pref_size 1
		.amdhsa_round_robin_scheduling 0
		.amdhsa_exception_fp_ieee_invalid_op 0
		.amdhsa_exception_fp_denorm_src 0
		.amdhsa_exception_fp_ieee_div_zero 0
		.amdhsa_exception_fp_ieee_overflow 0
		.amdhsa_exception_fp_ieee_underflow 0
		.amdhsa_exception_fp_ieee_inexact 0
		.amdhsa_exception_int_div_zero 0
	.end_amdhsa_kernel
	.section	.text._ZL26rocblas_sger_gfx942_kernelILi256E19rocblas_complex_numIdEPKS1_S3_PS1_EviiT1_lT2_lllS6_lllT3_lll,"axG",@progbits,_ZL26rocblas_sger_gfx942_kernelILi256E19rocblas_complex_numIdEPKS1_S3_PS1_EviiT1_lT2_lllS6_lllT3_lll,comdat
.Lfunc_end22:
	.size	_ZL26rocblas_sger_gfx942_kernelILi256E19rocblas_complex_numIdEPKS1_S3_PS1_EviiT1_lT2_lllS6_lllT3_lll, .Lfunc_end22-_ZL26rocblas_sger_gfx942_kernelILi256E19rocblas_complex_numIdEPKS1_S3_PS1_EviiT1_lT2_lllS6_lllT3_lll
                                        ; -- End function
	.set _ZL26rocblas_sger_gfx942_kernelILi256E19rocblas_complex_numIdEPKS1_S3_PS1_EviiT1_lT2_lllS6_lllT3_lll.num_vgpr, 0
	.set _ZL26rocblas_sger_gfx942_kernelILi256E19rocblas_complex_numIdEPKS1_S3_PS1_EviiT1_lT2_lllS6_lllT3_lll.num_agpr, 0
	.set _ZL26rocblas_sger_gfx942_kernelILi256E19rocblas_complex_numIdEPKS1_S3_PS1_EviiT1_lT2_lllS6_lllT3_lll.numbered_sgpr, 0
	.set _ZL26rocblas_sger_gfx942_kernelILi256E19rocblas_complex_numIdEPKS1_S3_PS1_EviiT1_lT2_lllS6_lllT3_lll.num_named_barrier, 0
	.set _ZL26rocblas_sger_gfx942_kernelILi256E19rocblas_complex_numIdEPKS1_S3_PS1_EviiT1_lT2_lllS6_lllT3_lll.private_seg_size, 0
	.set _ZL26rocblas_sger_gfx942_kernelILi256E19rocblas_complex_numIdEPKS1_S3_PS1_EviiT1_lT2_lllS6_lllT3_lll.uses_vcc, 0
	.set _ZL26rocblas_sger_gfx942_kernelILi256E19rocblas_complex_numIdEPKS1_S3_PS1_EviiT1_lT2_lllS6_lllT3_lll.uses_flat_scratch, 0
	.set _ZL26rocblas_sger_gfx942_kernelILi256E19rocblas_complex_numIdEPKS1_S3_PS1_EviiT1_lT2_lllS6_lllT3_lll.has_dyn_sized_stack, 0
	.set _ZL26rocblas_sger_gfx942_kernelILi256E19rocblas_complex_numIdEPKS1_S3_PS1_EviiT1_lT2_lllS6_lllT3_lll.has_recursion, 0
	.set _ZL26rocblas_sger_gfx942_kernelILi256E19rocblas_complex_numIdEPKS1_S3_PS1_EviiT1_lT2_lllS6_lllT3_lll.has_indirect_call, 0
	.section	.AMDGPU.csdata,"",@progbits
; Kernel info:
; codeLenInByte = 4
; TotalNumSgprs: 0
; NumVgprs: 0
; ScratchSize: 0
; MemoryBound: 0
; FloatMode: 240
; IeeeMode: 1
; LDSByteSize: 0 bytes/workgroup (compile time only)
; SGPRBlocks: 0
; VGPRBlocks: 0
; NumSGPRsForWavesPerEU: 1
; NumVGPRsForWavesPerEU: 1
; Occupancy: 16
; WaveLimiterHint : 0
; COMPUTE_PGM_RSRC2:SCRATCH_EN: 0
; COMPUTE_PGM_RSRC2:USER_SGPR: 2
; COMPUTE_PGM_RSRC2:TRAP_HANDLER: 0
; COMPUTE_PGM_RSRC2:TGID_X_EN: 1
; COMPUTE_PGM_RSRC2:TGID_Y_EN: 0
; COMPUTE_PGM_RSRC2:TGID_Z_EN: 0
; COMPUTE_PGM_RSRC2:TIDIG_COMP_CNT: 0
	.section	.text._ZL26rocblas_sger_gfx942_kernelILi256E19rocblas_complex_numIdES1_PKS1_PS1_EviiT1_lT2_lllS6_lllT3_lll,"axG",@progbits,_ZL26rocblas_sger_gfx942_kernelILi256E19rocblas_complex_numIdES1_PKS1_PS1_EviiT1_lT2_lllS6_lllT3_lll,comdat
	.globl	_ZL26rocblas_sger_gfx942_kernelILi256E19rocblas_complex_numIdES1_PKS1_PS1_EviiT1_lT2_lllS6_lllT3_lll ; -- Begin function _ZL26rocblas_sger_gfx942_kernelILi256E19rocblas_complex_numIdES1_PKS1_PS1_EviiT1_lT2_lllS6_lllT3_lll
	.p2align	8
	.type	_ZL26rocblas_sger_gfx942_kernelILi256E19rocblas_complex_numIdES1_PKS1_PS1_EviiT1_lT2_lllS6_lllT3_lll,@function
_ZL26rocblas_sger_gfx942_kernelILi256E19rocblas_complex_numIdES1_PKS1_PS1_EviiT1_lT2_lllS6_lllT3_lll: ; @_ZL26rocblas_sger_gfx942_kernelILi256E19rocblas_complex_numIdES1_PKS1_PS1_EviiT1_lT2_lllS6_lllT3_lll
; %bb.0:
	s_endpgm
	.section	.rodata,"a",@progbits
	.p2align	6, 0x0
	.amdhsa_kernel _ZL26rocblas_sger_gfx942_kernelILi256E19rocblas_complex_numIdES1_PKS1_PS1_EviiT1_lT2_lllS6_lllT3_lll
		.amdhsa_group_segment_fixed_size 0
		.amdhsa_private_segment_fixed_size 0
		.amdhsa_kernarg_size 128
		.amdhsa_user_sgpr_count 2
		.amdhsa_user_sgpr_dispatch_ptr 0
		.amdhsa_user_sgpr_queue_ptr 0
		.amdhsa_user_sgpr_kernarg_segment_ptr 1
		.amdhsa_user_sgpr_dispatch_id 0
		.amdhsa_user_sgpr_private_segment_size 0
		.amdhsa_wavefront_size32 1
		.amdhsa_uses_dynamic_stack 0
		.amdhsa_enable_private_segment 0
		.amdhsa_system_sgpr_workgroup_id_x 1
		.amdhsa_system_sgpr_workgroup_id_y 0
		.amdhsa_system_sgpr_workgroup_id_z 0
		.amdhsa_system_sgpr_workgroup_info 0
		.amdhsa_system_vgpr_workitem_id 0
		.amdhsa_next_free_vgpr 1
		.amdhsa_next_free_sgpr 1
		.amdhsa_reserve_vcc 0
		.amdhsa_float_round_mode_32 0
		.amdhsa_float_round_mode_16_64 0
		.amdhsa_float_denorm_mode_32 3
		.amdhsa_float_denorm_mode_16_64 3
		.amdhsa_fp16_overflow 0
		.amdhsa_workgroup_processor_mode 1
		.amdhsa_memory_ordered 1
		.amdhsa_forward_progress 1
		.amdhsa_inst_pref_size 1
		.amdhsa_round_robin_scheduling 0
		.amdhsa_exception_fp_ieee_invalid_op 0
		.amdhsa_exception_fp_denorm_src 0
		.amdhsa_exception_fp_ieee_div_zero 0
		.amdhsa_exception_fp_ieee_overflow 0
		.amdhsa_exception_fp_ieee_underflow 0
		.amdhsa_exception_fp_ieee_inexact 0
		.amdhsa_exception_int_div_zero 0
	.end_amdhsa_kernel
	.section	.text._ZL26rocblas_sger_gfx942_kernelILi256E19rocblas_complex_numIdES1_PKS1_PS1_EviiT1_lT2_lllS6_lllT3_lll,"axG",@progbits,_ZL26rocblas_sger_gfx942_kernelILi256E19rocblas_complex_numIdES1_PKS1_PS1_EviiT1_lT2_lllS6_lllT3_lll,comdat
.Lfunc_end23:
	.size	_ZL26rocblas_sger_gfx942_kernelILi256E19rocblas_complex_numIdES1_PKS1_PS1_EviiT1_lT2_lllS6_lllT3_lll, .Lfunc_end23-_ZL26rocblas_sger_gfx942_kernelILi256E19rocblas_complex_numIdES1_PKS1_PS1_EviiT1_lT2_lllS6_lllT3_lll
                                        ; -- End function
	.set _ZL26rocblas_sger_gfx942_kernelILi256E19rocblas_complex_numIdES1_PKS1_PS1_EviiT1_lT2_lllS6_lllT3_lll.num_vgpr, 0
	.set _ZL26rocblas_sger_gfx942_kernelILi256E19rocblas_complex_numIdES1_PKS1_PS1_EviiT1_lT2_lllS6_lllT3_lll.num_agpr, 0
	.set _ZL26rocblas_sger_gfx942_kernelILi256E19rocblas_complex_numIdES1_PKS1_PS1_EviiT1_lT2_lllS6_lllT3_lll.numbered_sgpr, 0
	.set _ZL26rocblas_sger_gfx942_kernelILi256E19rocblas_complex_numIdES1_PKS1_PS1_EviiT1_lT2_lllS6_lllT3_lll.num_named_barrier, 0
	.set _ZL26rocblas_sger_gfx942_kernelILi256E19rocblas_complex_numIdES1_PKS1_PS1_EviiT1_lT2_lllS6_lllT3_lll.private_seg_size, 0
	.set _ZL26rocblas_sger_gfx942_kernelILi256E19rocblas_complex_numIdES1_PKS1_PS1_EviiT1_lT2_lllS6_lllT3_lll.uses_vcc, 0
	.set _ZL26rocblas_sger_gfx942_kernelILi256E19rocblas_complex_numIdES1_PKS1_PS1_EviiT1_lT2_lllS6_lllT3_lll.uses_flat_scratch, 0
	.set _ZL26rocblas_sger_gfx942_kernelILi256E19rocblas_complex_numIdES1_PKS1_PS1_EviiT1_lT2_lllS6_lllT3_lll.has_dyn_sized_stack, 0
	.set _ZL26rocblas_sger_gfx942_kernelILi256E19rocblas_complex_numIdES1_PKS1_PS1_EviiT1_lT2_lllS6_lllT3_lll.has_recursion, 0
	.set _ZL26rocblas_sger_gfx942_kernelILi256E19rocblas_complex_numIdES1_PKS1_PS1_EviiT1_lT2_lllS6_lllT3_lll.has_indirect_call, 0
	.section	.AMDGPU.csdata,"",@progbits
; Kernel info:
; codeLenInByte = 4
; TotalNumSgprs: 0
; NumVgprs: 0
; ScratchSize: 0
; MemoryBound: 0
; FloatMode: 240
; IeeeMode: 1
; LDSByteSize: 0 bytes/workgroup (compile time only)
; SGPRBlocks: 0
; VGPRBlocks: 0
; NumSGPRsForWavesPerEU: 1
; NumVGPRsForWavesPerEU: 1
; Occupancy: 16
; WaveLimiterHint : 0
; COMPUTE_PGM_RSRC2:SCRATCH_EN: 0
; COMPUTE_PGM_RSRC2:USER_SGPR: 2
; COMPUTE_PGM_RSRC2:TRAP_HANDLER: 0
; COMPUTE_PGM_RSRC2:TGID_X_EN: 1
; COMPUTE_PGM_RSRC2:TGID_Y_EN: 0
; COMPUTE_PGM_RSRC2:TGID_Z_EN: 0
; COMPUTE_PGM_RSRC2:TIDIG_COMP_CNT: 0
	.section	.text._ZL19rocblas_sger_kernelILi1024E19rocblas_complex_numIdEPKS1_S3_PS1_EviiT1_lT2_lllS6_lllT3_lmli,"axG",@progbits,_ZL19rocblas_sger_kernelILi1024E19rocblas_complex_numIdEPKS1_S3_PS1_EviiT1_lT2_lllS6_lllT3_lmli,comdat
	.globl	_ZL19rocblas_sger_kernelILi1024E19rocblas_complex_numIdEPKS1_S3_PS1_EviiT1_lT2_lllS6_lllT3_lmli ; -- Begin function _ZL19rocblas_sger_kernelILi1024E19rocblas_complex_numIdEPKS1_S3_PS1_EviiT1_lT2_lllS6_lllT3_lmli
	.p2align	8
	.type	_ZL19rocblas_sger_kernelILi1024E19rocblas_complex_numIdEPKS1_S3_PS1_EviiT1_lT2_lllS6_lllT3_lmli,@function
_ZL19rocblas_sger_kernelILi1024E19rocblas_complex_numIdEPKS1_S3_PS1_EviiT1_lT2_lllS6_lllT3_lmli: ; @_ZL19rocblas_sger_kernelILi1024E19rocblas_complex_numIdEPKS1_S3_PS1_EviiT1_lT2_lllS6_lllT3_lmli
; %bb.0:
	s_load_b32 s28, s[0:1], 0x78
	s_lshr_b32 s2, ttmp7, 16
	s_wait_kmcnt 0x0
	s_cmp_ge_u32 s2, s28
	s_cbranch_scc1 .LBB24_8
; %bb.1:
	s_clause 0x6
	s_load_b128 s[24:27], s[0:1], 0x20
	s_load_b256 s[12:19], s[0:1], 0x30
	s_load_b32 s29, s[0:1], 0x0
	s_load_b256 s[4:11], s[0:1], 0x50
	s_load_b64 s[34:35], s[0:1], 0x18
	s_load_b128 s[20:23], s[0:1], 0x8
	s_load_b64 s[36:37], s[0:1], 0x70
	s_mov_b32 s30, ttmp9
	s_ashr_i32 s31, ttmp9, 31
	s_mov_b32 s3, 0
	s_wait_kmcnt 0x0
	v_mad_co_u64_u32 v[1:2], null, s26, v0, 0
	v_cmp_gt_i32_e64 s0, s29, v0
	s_mul_u64 s[10:11], s[10:11], s[30:31]
	s_lshl_b64 s[8:9], s[8:9], 4
	s_lshl_b64 s[10:11], s[10:11], 4
	s_lshl_b64 s[16:17], s[16:17], 4
	v_cndmask_b32_e64 v4, 0, v0, s0
	v_mad_co_u64_u32 v[2:3], null, s27, v0, v[2:3]
	s_add_nc_u64 s[8:9], s[10:11], s[8:9]
	s_mul_u64 s[18:19], s[18:19], s[30:31]
	v_lshlrev_b32_e32 v3, 4, v4
	s_lshl_b64 s[24:25], s[24:25], 4
	s_add_nc_u64 s[6:7], s[6:7], s[8:9]
	s_add_nc_u64 s[14:15], s[14:15], s[16:17]
	v_lshlrev_b64_e32 v[1:2], 4, v[1:2]
	s_lshl_b64 s[16:17], s[18:19], 4
	s_add_nc_u64 s[18:19], s[34:35], s[24:25]
	v_add_co_u32 v3, s1, s6, v3
	s_wait_alu 0xf1ff
	v_add_co_ci_u32_e64 v4, null, s7, 0, s1
	v_add_co_u32 v5, vcc_lo, s18, v1
	s_delay_alu instid0(VALU_DEP_1)
	v_add_co_ci_u32_e64 v6, null, s19, v2, vcc_lo
	v_add_co_u32 v1, vcc_lo, v3, 8
	s_wait_alu 0xfffd
	v_add_co_ci_u32_e64 v2, null, 0, v4, vcc_lo
	v_add_co_u32 v3, vcc_lo, v5, 8
	s_wait_alu 0xfffd
	v_add_co_ci_u32_e64 v4, null, 0, v6, vcc_lo
	s_add_nc_u64 s[14:15], s[14:15], s[16:17]
	s_lshl_b64 s[6:7], s[36:37], 4
	s_lshl_b64 s[12:13], s[12:13], 4
	;; [unrolled: 1-line block ×3, first 2 shown]
	s_branch .LBB24_4
.LBB24_2:                               ;   in Loop: Header=BB24_4 Depth=1
	s_wait_alu 0xfffe
	s_or_b32 exec_lo, exec_lo, s18
.LBB24_3:                               ;   in Loop: Header=BB24_4 Depth=1
	s_add_co_i32 s2, s2, 0x10000
	s_wait_alu 0xfffe
	s_cmp_lt_u32 s2, s28
	s_cbranch_scc0 .LBB24_8
.LBB24_4:                               ; =>This Loop Header: Depth=1
                                        ;     Child Loop BB24_7 Depth 2
	s_mul_u64 s[8:9], s[22:23], s[2:3]
	s_wait_alu 0xfffe
	s_lshl_b64 s[8:9], s[8:9], 4
	s_wait_alu 0xfffe
	s_add_nc_u64 s[8:9], s[20:21], s[8:9]
	s_load_b128 s[8:11], s[8:9], 0x0
	s_wait_kmcnt 0x0
	v_cmp_neq_f64_e64 s1, s[8:9], 0
	v_cmp_neq_f64_e64 s18, s[10:11], 0
	s_or_b32 s1, s1, s18
	s_wait_alu 0xfffe
	s_and_not1_b32 vcc_lo, exec_lo, s1
	s_wait_alu 0xfffe
	s_cbranch_vccnz .LBB24_3
; %bb.5:                                ;   in Loop: Header=BB24_4 Depth=1
	s_and_saveexec_b32 s18, s0
	s_cbranch_execz .LBB24_2
; %bb.6:                                ;   in Loop: Header=BB24_4 Depth=1
	s_mul_u64 s[24:25], s[4:5], s[2:3]
	v_mad_co_u64_u32 v[9:10], null, s6, s2, v[1:2]
	s_wait_alu 0xfffe
	s_lshl_b64 s[24:25], s[24:25], 4
	v_mad_co_u64_u32 v[11:12], null, s12, s2, v[3:4]
	s_wait_alu 0xfffe
	s_add_nc_u64 s[24:25], s[14:15], s[24:25]
	s_load_b128 s[24:27], s[24:25], 0x0
	s_delay_alu instid0(VALU_DEP_1) | instskip(NEXT) | instid1(VALU_DEP_1)
	v_mad_co_u64_u32 v[13:14], null, s7, s2, v[10:11]
	v_mad_co_u64_u32 v[14:15], null, s13, s2, v[12:13]
	v_dual_mov_b32 v10, v13 :: v_dual_mov_b32 v13, v0
	s_delay_alu instid0(VALU_DEP_2) | instskip(SKIP_3) | instid1(VALU_DEP_2)
	v_mov_b32_e32 v12, v14
	s_wait_kmcnt 0x0
	v_mul_f64_e64 v[5:6], s[10:11], s[26:27]
	v_mul_f64_e64 v[7:8], s[8:9], s[26:27]
	v_fma_f64 v[5:6], s[8:9], s[24:25], -v[5:6]
	s_delay_alu instid0(VALU_DEP_2)
	v_fma_f64 v[7:8], s[10:11], s[24:25], v[7:8]
	s_mov_b32 s8, 0
.LBB24_7:                               ;   Parent Loop BB24_4 Depth=1
                                        ; =>  This Inner Loop Header: Depth=2
	global_load_b128 v[14:17], v[11:12], off offset:-8
	global_load_b128 v[18:21], v[9:10], off offset:-8
	v_add_nc_u32_e32 v13, 0x400, v13
	v_add_co_u32 v11, vcc_lo, v11, s16
	s_wait_alu 0xfffd
	v_add_co_ci_u32_e64 v12, null, s17, v12, vcc_lo
	s_delay_alu instid0(VALU_DEP_3)
	v_cmp_le_i32_e32 vcc_lo, s29, v13
	s_wait_alu 0xfffe
	s_or_b32 s8, vcc_lo, s8
	s_wait_loadcnt 0x1
	v_mul_f64_e32 v[22:23], v[7:8], v[16:17]
	v_mul_f64_e32 v[16:17], v[5:6], v[16:17]
	s_delay_alu instid0(VALU_DEP_2) | instskip(NEXT) | instid1(VALU_DEP_2)
	v_fma_f64 v[22:23], v[5:6], v[14:15], -v[22:23]
	v_fma_f64 v[16:17], v[7:8], v[14:15], v[16:17]
	s_wait_loadcnt 0x0
	s_delay_alu instid0(VALU_DEP_2) | instskip(NEXT) | instid1(VALU_DEP_2)
	v_add_f64_e32 v[14:15], v[18:19], v[22:23]
	v_add_f64_e32 v[16:17], v[16:17], v[20:21]
	global_store_b128 v[9:10], v[14:17], off offset:-8
	v_add_co_u32 v9, s1, 0x4000, v9
	s_wait_alu 0xf1ff
	v_add_co_ci_u32_e64 v10, null, 0, v10, s1
	s_wait_alu 0xfffe
	s_and_not1_b32 exec_lo, exec_lo, s8
	s_cbranch_execnz .LBB24_7
	s_branch .LBB24_2
.LBB24_8:
	s_endpgm
	.section	.rodata,"a",@progbits
	.p2align	6, 0x0
	.amdhsa_kernel _ZL19rocblas_sger_kernelILi1024E19rocblas_complex_numIdEPKS1_S3_PS1_EviiT1_lT2_lllS6_lllT3_lmli
		.amdhsa_group_segment_fixed_size 0
		.amdhsa_private_segment_fixed_size 0
		.amdhsa_kernarg_size 124
		.amdhsa_user_sgpr_count 2
		.amdhsa_user_sgpr_dispatch_ptr 0
		.amdhsa_user_sgpr_queue_ptr 0
		.amdhsa_user_sgpr_kernarg_segment_ptr 1
		.amdhsa_user_sgpr_dispatch_id 0
		.amdhsa_user_sgpr_private_segment_size 0
		.amdhsa_wavefront_size32 1
		.amdhsa_uses_dynamic_stack 0
		.amdhsa_enable_private_segment 0
		.amdhsa_system_sgpr_workgroup_id_x 1
		.amdhsa_system_sgpr_workgroup_id_y 0
		.amdhsa_system_sgpr_workgroup_id_z 1
		.amdhsa_system_sgpr_workgroup_info 0
		.amdhsa_system_vgpr_workitem_id 0
		.amdhsa_next_free_vgpr 24
		.amdhsa_next_free_sgpr 38
		.amdhsa_reserve_vcc 1
		.amdhsa_float_round_mode_32 0
		.amdhsa_float_round_mode_16_64 0
		.amdhsa_float_denorm_mode_32 3
		.amdhsa_float_denorm_mode_16_64 3
		.amdhsa_fp16_overflow 0
		.amdhsa_workgroup_processor_mode 1
		.amdhsa_memory_ordered 1
		.amdhsa_forward_progress 1
		.amdhsa_inst_pref_size 6
		.amdhsa_round_robin_scheduling 0
		.amdhsa_exception_fp_ieee_invalid_op 0
		.amdhsa_exception_fp_denorm_src 0
		.amdhsa_exception_fp_ieee_div_zero 0
		.amdhsa_exception_fp_ieee_overflow 0
		.amdhsa_exception_fp_ieee_underflow 0
		.amdhsa_exception_fp_ieee_inexact 0
		.amdhsa_exception_int_div_zero 0
	.end_amdhsa_kernel
	.section	.text._ZL19rocblas_sger_kernelILi1024E19rocblas_complex_numIdEPKS1_S3_PS1_EviiT1_lT2_lllS6_lllT3_lmli,"axG",@progbits,_ZL19rocblas_sger_kernelILi1024E19rocblas_complex_numIdEPKS1_S3_PS1_EviiT1_lT2_lllS6_lllT3_lmli,comdat
.Lfunc_end24:
	.size	_ZL19rocblas_sger_kernelILi1024E19rocblas_complex_numIdEPKS1_S3_PS1_EviiT1_lT2_lllS6_lllT3_lmli, .Lfunc_end24-_ZL19rocblas_sger_kernelILi1024E19rocblas_complex_numIdEPKS1_S3_PS1_EviiT1_lT2_lllS6_lllT3_lmli
                                        ; -- End function
	.set _ZL19rocblas_sger_kernelILi1024E19rocblas_complex_numIdEPKS1_S3_PS1_EviiT1_lT2_lllS6_lllT3_lmli.num_vgpr, 24
	.set _ZL19rocblas_sger_kernelILi1024E19rocblas_complex_numIdEPKS1_S3_PS1_EviiT1_lT2_lllS6_lllT3_lmli.num_agpr, 0
	.set _ZL19rocblas_sger_kernelILi1024E19rocblas_complex_numIdEPKS1_S3_PS1_EviiT1_lT2_lllS6_lllT3_lmli.numbered_sgpr, 38
	.set _ZL19rocblas_sger_kernelILi1024E19rocblas_complex_numIdEPKS1_S3_PS1_EviiT1_lT2_lllS6_lllT3_lmli.num_named_barrier, 0
	.set _ZL19rocblas_sger_kernelILi1024E19rocblas_complex_numIdEPKS1_S3_PS1_EviiT1_lT2_lllS6_lllT3_lmli.private_seg_size, 0
	.set _ZL19rocblas_sger_kernelILi1024E19rocblas_complex_numIdEPKS1_S3_PS1_EviiT1_lT2_lllS6_lllT3_lmli.uses_vcc, 1
	.set _ZL19rocblas_sger_kernelILi1024E19rocblas_complex_numIdEPKS1_S3_PS1_EviiT1_lT2_lllS6_lllT3_lmli.uses_flat_scratch, 0
	.set _ZL19rocblas_sger_kernelILi1024E19rocblas_complex_numIdEPKS1_S3_PS1_EviiT1_lT2_lllS6_lllT3_lmli.has_dyn_sized_stack, 0
	.set _ZL19rocblas_sger_kernelILi1024E19rocblas_complex_numIdEPKS1_S3_PS1_EviiT1_lT2_lllS6_lllT3_lmli.has_recursion, 0
	.set _ZL19rocblas_sger_kernelILi1024E19rocblas_complex_numIdEPKS1_S3_PS1_EviiT1_lT2_lllS6_lllT3_lmli.has_indirect_call, 0
	.section	.AMDGPU.csdata,"",@progbits
; Kernel info:
; codeLenInByte = 684
; TotalNumSgprs: 40
; NumVgprs: 24
; ScratchSize: 0
; MemoryBound: 0
; FloatMode: 240
; IeeeMode: 1
; LDSByteSize: 0 bytes/workgroup (compile time only)
; SGPRBlocks: 0
; VGPRBlocks: 2
; NumSGPRsForWavesPerEU: 40
; NumVGPRsForWavesPerEU: 24
; Occupancy: 16
; WaveLimiterHint : 0
; COMPUTE_PGM_RSRC2:SCRATCH_EN: 0
; COMPUTE_PGM_RSRC2:USER_SGPR: 2
; COMPUTE_PGM_RSRC2:TRAP_HANDLER: 0
; COMPUTE_PGM_RSRC2:TGID_X_EN: 1
; COMPUTE_PGM_RSRC2:TGID_Y_EN: 0
; COMPUTE_PGM_RSRC2:TGID_Z_EN: 1
; COMPUTE_PGM_RSRC2:TIDIG_COMP_CNT: 0
	.section	.text._ZL19rocblas_sger_kernelILi1024E19rocblas_complex_numIdES1_PKS1_PS1_EviiT1_lT2_lllS6_lllT3_lmli,"axG",@progbits,_ZL19rocblas_sger_kernelILi1024E19rocblas_complex_numIdES1_PKS1_PS1_EviiT1_lT2_lllS6_lllT3_lmli,comdat
	.globl	_ZL19rocblas_sger_kernelILi1024E19rocblas_complex_numIdES1_PKS1_PS1_EviiT1_lT2_lllS6_lllT3_lmli ; -- Begin function _ZL19rocblas_sger_kernelILi1024E19rocblas_complex_numIdES1_PKS1_PS1_EviiT1_lT2_lllS6_lllT3_lmli
	.p2align	8
	.type	_ZL19rocblas_sger_kernelILi1024E19rocblas_complex_numIdES1_PKS1_PS1_EviiT1_lT2_lllS6_lllT3_lmli,@function
_ZL19rocblas_sger_kernelILi1024E19rocblas_complex_numIdES1_PKS1_PS1_EviiT1_lT2_lllS6_lllT3_lmli: ; @_ZL19rocblas_sger_kernelILi1024E19rocblas_complex_numIdES1_PKS1_PS1_EviiT1_lT2_lllS6_lllT3_lmli
; %bb.0:
	s_load_b32 s28, s[0:1], 0x80
	s_lshr_b32 s2, ttmp7, 16
	s_wait_kmcnt 0x0
	s_cmp_ge_u32 s2, s28
	s_cbranch_scc1 .LBB25_8
; %bb.1:
	s_clause 0x6
	s_load_b128 s[24:27], s[0:1], 0x28
	s_load_b128 s[20:23], s[0:1], 0x8
	s_load_b256 s[12:19], s[0:1], 0x38
	s_load_b32 s29, s[0:1], 0x0
	s_load_b256 s[4:11], s[0:1], 0x58
	s_load_b64 s[34:35], s[0:1], 0x20
	s_load_b64 s[36:37], s[0:1], 0x78
	s_mov_b32 s30, ttmp9
	s_ashr_i32 s31, ttmp9, 31
	s_mov_b32 s3, 0
	s_wait_kmcnt 0x0
	v_mad_co_u64_u32 v[1:2], null, s26, v0, 0
	v_cmp_neq_f64_e64 s1, s[20:21], 0
	v_cmp_neq_f64_e64 s33, s[22:23], 0
	v_cmp_gt_i32_e64 s0, s29, v0
	s_mul_u64 s[10:11], s[10:11], s[30:31]
	s_lshl_b64 s[8:9], s[8:9], 4
	s_lshl_b64 s[10:11], s[10:11], 4
	v_mad_co_u64_u32 v[2:3], null, s27, v0, v[2:3]
	v_cndmask_b32_e64 v4, 0, v0, s0
	s_add_nc_u64 s[10:11], s[10:11], s[8:9]
	s_lshl_b64 s[16:17], s[16:17], 4
	s_mul_u64 s[18:19], s[18:19], s[30:31]
	s_lshl_b64 s[24:25], s[24:25], 4
	v_lshlrev_b32_e32 v3, 4, v4
	s_delay_alu instid0(VALU_DEP_3)
	v_lshlrev_b64_e32 v[1:2], 4, v[1:2]
	s_add_nc_u64 s[6:7], s[6:7], s[10:11]
	s_add_nc_u64 s[14:15], s[14:15], s[16:17]
	s_lshl_b64 s[16:17], s[18:19], 4
	s_add_nc_u64 s[18:19], s[34:35], s[24:25]
	v_add_co_u32 v3, s6, s6, v3
	s_wait_alu 0xf1ff
	v_add_co_ci_u32_e64 v4, null, s7, 0, s6
	v_add_co_u32 v5, vcc_lo, s18, v1
	s_delay_alu instid0(VALU_DEP_1)
	v_add_co_ci_u32_e64 v6, null, s19, v2, vcc_lo
	v_add_co_u32 v1, vcc_lo, v3, 8
	s_wait_alu 0xfffd
	v_add_co_ci_u32_e64 v2, null, 0, v4, vcc_lo
	v_add_co_u32 v3, vcc_lo, v5, 8
	s_wait_alu 0xfffd
	v_add_co_ci_u32_e64 v4, null, 0, v6, vcc_lo
	s_add_nc_u64 s[8:9], s[14:15], s[16:17]
	s_lshl_b64 s[6:7], s[36:37], 4
	s_lshl_b64 s[10:11], s[12:13], 4
	s_lshl_b64 s[12:13], s[26:27], 14
	s_or_b32 s14, s1, s33
	s_branch .LBB25_4
.LBB25_2:                               ;   in Loop: Header=BB25_4 Depth=1
	s_or_b32 exec_lo, exec_lo, s15
.LBB25_3:                               ;   in Loop: Header=BB25_4 Depth=1
	s_add_co_i32 s2, s2, 0x10000
	s_wait_alu 0xfffe
	s_cmp_lt_u32 s2, s28
	s_cbranch_scc0 .LBB25_8
.LBB25_4:                               ; =>This Loop Header: Depth=1
                                        ;     Child Loop BB25_7 Depth 2
	s_and_not1_b32 vcc_lo, exec_lo, s14
	s_wait_alu 0xfffe
	s_cbranch_vccnz .LBB25_3
; %bb.5:                                ;   in Loop: Header=BB25_4 Depth=1
	s_and_saveexec_b32 s15, s0
	s_cbranch_execz .LBB25_2
; %bb.6:                                ;   in Loop: Header=BB25_4 Depth=1
	s_mul_u64 s[16:17], s[4:5], s[2:3]
	v_mad_co_u64_u32 v[9:10], null, s6, s2, v[1:2]
	s_wait_alu 0xfffe
	s_lshl_b64 s[16:17], s[16:17], 4
	v_mad_co_u64_u32 v[11:12], null, s10, s2, v[3:4]
	s_wait_alu 0xfffe
	s_add_nc_u64 s[16:17], s[8:9], s[16:17]
	s_load_b128 s[16:19], s[16:17], 0x0
	s_delay_alu instid0(VALU_DEP_1) | instskip(NEXT) | instid1(VALU_DEP_1)
	v_mad_co_u64_u32 v[13:14], null, s7, s2, v[10:11]
	v_mad_co_u64_u32 v[14:15], null, s11, s2, v[12:13]
	v_dual_mov_b32 v10, v13 :: v_dual_mov_b32 v13, v0
	s_delay_alu instid0(VALU_DEP_2) | instskip(SKIP_3) | instid1(VALU_DEP_2)
	v_mov_b32_e32 v12, v14
	s_wait_kmcnt 0x0
	v_mul_f64_e64 v[5:6], s[22:23], s[18:19]
	v_mul_f64_e64 v[7:8], s[20:21], s[18:19]
	v_fma_f64 v[5:6], s[20:21], s[16:17], -v[5:6]
	s_delay_alu instid0(VALU_DEP_2)
	v_fma_f64 v[7:8], s[22:23], s[16:17], v[7:8]
	s_mov_b32 s16, 0
.LBB25_7:                               ;   Parent Loop BB25_4 Depth=1
                                        ; =>  This Inner Loop Header: Depth=2
	global_load_b128 v[14:17], v[11:12], off offset:-8
	global_load_b128 v[18:21], v[9:10], off offset:-8
	v_add_nc_u32_e32 v13, 0x400, v13
	v_add_co_u32 v11, vcc_lo, v11, s12
	s_wait_alu 0xfffd
	v_add_co_ci_u32_e64 v12, null, s13, v12, vcc_lo
	s_delay_alu instid0(VALU_DEP_3)
	v_cmp_le_i32_e32 vcc_lo, s29, v13
	s_wait_alu 0xfffe
	s_or_b32 s16, vcc_lo, s16
	s_wait_loadcnt 0x1
	v_mul_f64_e32 v[22:23], v[7:8], v[16:17]
	v_mul_f64_e32 v[16:17], v[5:6], v[16:17]
	s_delay_alu instid0(VALU_DEP_2) | instskip(NEXT) | instid1(VALU_DEP_2)
	v_fma_f64 v[22:23], v[5:6], v[14:15], -v[22:23]
	v_fma_f64 v[16:17], v[7:8], v[14:15], v[16:17]
	s_wait_loadcnt 0x0
	s_delay_alu instid0(VALU_DEP_2) | instskip(NEXT) | instid1(VALU_DEP_2)
	v_add_f64_e32 v[14:15], v[18:19], v[22:23]
	v_add_f64_e32 v[16:17], v[16:17], v[20:21]
	global_store_b128 v[9:10], v[14:17], off offset:-8
	v_add_co_u32 v9, s1, 0x4000, v9
	s_wait_alu 0xf1ff
	v_add_co_ci_u32_e64 v10, null, 0, v10, s1
	s_wait_alu 0xfffe
	s_and_not1_b32 exec_lo, exec_lo, s16
	s_cbranch_execnz .LBB25_7
	s_branch .LBB25_2
.LBB25_8:
	s_endpgm
	.section	.rodata,"a",@progbits
	.p2align	6, 0x0
	.amdhsa_kernel _ZL19rocblas_sger_kernelILi1024E19rocblas_complex_numIdES1_PKS1_PS1_EviiT1_lT2_lllS6_lllT3_lmli
		.amdhsa_group_segment_fixed_size 0
		.amdhsa_private_segment_fixed_size 0
		.amdhsa_kernarg_size 132
		.amdhsa_user_sgpr_count 2
		.amdhsa_user_sgpr_dispatch_ptr 0
		.amdhsa_user_sgpr_queue_ptr 0
		.amdhsa_user_sgpr_kernarg_segment_ptr 1
		.amdhsa_user_sgpr_dispatch_id 0
		.amdhsa_user_sgpr_private_segment_size 0
		.amdhsa_wavefront_size32 1
		.amdhsa_uses_dynamic_stack 0
		.amdhsa_enable_private_segment 0
		.amdhsa_system_sgpr_workgroup_id_x 1
		.amdhsa_system_sgpr_workgroup_id_y 0
		.amdhsa_system_sgpr_workgroup_id_z 1
		.amdhsa_system_sgpr_workgroup_info 0
		.amdhsa_system_vgpr_workitem_id 0
		.amdhsa_next_free_vgpr 24
		.amdhsa_next_free_sgpr 38
		.amdhsa_reserve_vcc 1
		.amdhsa_float_round_mode_32 0
		.amdhsa_float_round_mode_16_64 0
		.amdhsa_float_denorm_mode_32 3
		.amdhsa_float_denorm_mode_16_64 3
		.amdhsa_fp16_overflow 0
		.amdhsa_workgroup_processor_mode 1
		.amdhsa_memory_ordered 1
		.amdhsa_forward_progress 1
		.amdhsa_inst_pref_size 6
		.amdhsa_round_robin_scheduling 0
		.amdhsa_exception_fp_ieee_invalid_op 0
		.amdhsa_exception_fp_denorm_src 0
		.amdhsa_exception_fp_ieee_div_zero 0
		.amdhsa_exception_fp_ieee_overflow 0
		.amdhsa_exception_fp_ieee_underflow 0
		.amdhsa_exception_fp_ieee_inexact 0
		.amdhsa_exception_int_div_zero 0
	.end_amdhsa_kernel
	.section	.text._ZL19rocblas_sger_kernelILi1024E19rocblas_complex_numIdES1_PKS1_PS1_EviiT1_lT2_lllS6_lllT3_lmli,"axG",@progbits,_ZL19rocblas_sger_kernelILi1024E19rocblas_complex_numIdES1_PKS1_PS1_EviiT1_lT2_lllS6_lllT3_lmli,comdat
.Lfunc_end25:
	.size	_ZL19rocblas_sger_kernelILi1024E19rocblas_complex_numIdES1_PKS1_PS1_EviiT1_lT2_lllS6_lllT3_lmli, .Lfunc_end25-_ZL19rocblas_sger_kernelILi1024E19rocblas_complex_numIdES1_PKS1_PS1_EviiT1_lT2_lllS6_lllT3_lmli
                                        ; -- End function
	.set _ZL19rocblas_sger_kernelILi1024E19rocblas_complex_numIdES1_PKS1_PS1_EviiT1_lT2_lllS6_lllT3_lmli.num_vgpr, 24
	.set _ZL19rocblas_sger_kernelILi1024E19rocblas_complex_numIdES1_PKS1_PS1_EviiT1_lT2_lllS6_lllT3_lmli.num_agpr, 0
	.set _ZL19rocblas_sger_kernelILi1024E19rocblas_complex_numIdES1_PKS1_PS1_EviiT1_lT2_lllS6_lllT3_lmli.numbered_sgpr, 38
	.set _ZL19rocblas_sger_kernelILi1024E19rocblas_complex_numIdES1_PKS1_PS1_EviiT1_lT2_lllS6_lllT3_lmli.num_named_barrier, 0
	.set _ZL19rocblas_sger_kernelILi1024E19rocblas_complex_numIdES1_PKS1_PS1_EviiT1_lT2_lllS6_lllT3_lmli.private_seg_size, 0
	.set _ZL19rocblas_sger_kernelILi1024E19rocblas_complex_numIdES1_PKS1_PS1_EviiT1_lT2_lllS6_lllT3_lmli.uses_vcc, 1
	.set _ZL19rocblas_sger_kernelILi1024E19rocblas_complex_numIdES1_PKS1_PS1_EviiT1_lT2_lllS6_lllT3_lmli.uses_flat_scratch, 0
	.set _ZL19rocblas_sger_kernelILi1024E19rocblas_complex_numIdES1_PKS1_PS1_EviiT1_lT2_lllS6_lllT3_lmli.has_dyn_sized_stack, 0
	.set _ZL19rocblas_sger_kernelILi1024E19rocblas_complex_numIdES1_PKS1_PS1_EviiT1_lT2_lllS6_lllT3_lmli.has_recursion, 0
	.set _ZL19rocblas_sger_kernelILi1024E19rocblas_complex_numIdES1_PKS1_PS1_EviiT1_lT2_lllS6_lllT3_lmli.has_indirect_call, 0
	.section	.AMDGPU.csdata,"",@progbits
; Kernel info:
; codeLenInByte = 648
; TotalNumSgprs: 40
; NumVgprs: 24
; ScratchSize: 0
; MemoryBound: 0
; FloatMode: 240
; IeeeMode: 1
; LDSByteSize: 0 bytes/workgroup (compile time only)
; SGPRBlocks: 0
; VGPRBlocks: 2
; NumSGPRsForWavesPerEU: 40
; NumVGPRsForWavesPerEU: 24
; Occupancy: 16
; WaveLimiterHint : 1
; COMPUTE_PGM_RSRC2:SCRATCH_EN: 0
; COMPUTE_PGM_RSRC2:USER_SGPR: 2
; COMPUTE_PGM_RSRC2:TRAP_HANDLER: 0
; COMPUTE_PGM_RSRC2:TGID_X_EN: 1
; COMPUTE_PGM_RSRC2:TGID_Y_EN: 0
; COMPUTE_PGM_RSRC2:TGID_Z_EN: 1
; COMPUTE_PGM_RSRC2:TIDIG_COMP_CNT: 0
	.section	.text._ZL18rocblas_ger_kernelILi32ELi32ELi2ELb0E19rocblas_complex_numIdEPKS1_S3_PS1_EviiT4_lT5_lllS6_lllT6_lmli,"axG",@progbits,_ZL18rocblas_ger_kernelILi32ELi32ELi2ELb0E19rocblas_complex_numIdEPKS1_S3_PS1_EviiT4_lT5_lllS6_lllT6_lmli,comdat
	.globl	_ZL18rocblas_ger_kernelILi32ELi32ELi2ELb0E19rocblas_complex_numIdEPKS1_S3_PS1_EviiT4_lT5_lllS6_lllT6_lmli ; -- Begin function _ZL18rocblas_ger_kernelILi32ELi32ELi2ELb0E19rocblas_complex_numIdEPKS1_S3_PS1_EviiT4_lT5_lllS6_lllT6_lmli
	.p2align	8
	.type	_ZL18rocblas_ger_kernelILi32ELi32ELi2ELb0E19rocblas_complex_numIdEPKS1_S3_PS1_EviiT4_lT5_lllS6_lllT6_lmli,@function
_ZL18rocblas_ger_kernelILi32ELi32ELi2ELb0E19rocblas_complex_numIdEPKS1_S3_PS1_EviiT4_lT5_lllS6_lllT6_lmli: ; @_ZL18rocblas_ger_kernelILi32ELi32ELi2ELb0E19rocblas_complex_numIdEPKS1_S3_PS1_EviiT4_lT5_lllS6_lllT6_lmli
; %bb.0:
	s_load_b32 s33, s[0:1], 0x78
	s_lshr_b32 s28, ttmp7, 16
	s_wait_kmcnt 0x0
	s_cmp_ge_u32 s28, s33
	s_cbranch_scc1 .LBB26_18
; %bb.1:
	s_clause 0x3
	s_load_b64 s[34:35], s[0:1], 0x0
	s_load_b128 s[24:27], s[0:1], 0x8
	s_load_b256 s[8:15], s[0:1], 0x50
	s_load_b256 s[16:23], s[0:1], 0x30
	v_and_b32_e32 v2, 0x3ff, v0
	s_wait_kmcnt 0x0
	s_add_co_i32 s2, s34, -1
	s_delay_alu instid0(SALU_CYCLE_1) | instskip(NEXT) | instid1(SALU_CYCLE_1)
	s_ashr_i32 s3, s2, 31
	s_lshr_b32 s3, s3, 27
	s_delay_alu instid0(SALU_CYCLE_1) | instskip(NEXT) | instid1(SALU_CYCLE_1)
	s_add_co_i32 s2, s2, s3
	s_ashr_i32 s29, s2, 5
	s_delay_alu instid0(SALU_CYCLE_1) | instskip(NEXT) | instid1(SALU_CYCLE_1)
	s_add_co_i32 s36, s29, 1
	s_cvt_f32_u32 s2, s36
	s_delay_alu instid0(SALU_CYCLE_3) | instskip(NEXT) | instid1(TRANS32_DEP_1)
	v_rcp_iflag_f32_e32 v1, s2
	v_readfirstlane_b32 s2, v1
	v_bfe_u32 v1, v0, 10, 10
	s_mul_f32 s30, s2, 0x4f7ffffe
	s_clause 0x1
	s_load_b64 s[2:3], s[0:1], 0x18
	s_load_b128 s[4:7], s[0:1], 0x20
	v_lshlrev_b32_e32 v0, 1, v1
	v_lshlrev_b32_e32 v12, 5, v1
	s_cvt_u32_f32 s37, s30
	s_load_b64 s[30:31], s[0:1], 0x70
	s_not_b32 s0, s29
	s_delay_alu instid0(SALU_CYCLE_1) | instskip(NEXT) | instid1(SALU_CYCLE_1)
	s_mul_i32 s0, s0, s37
	s_mul_hi_u32 s1, s37, s0
	v_cmp_eq_u32_e64 s0, 0, v1
	s_add_co_i32 s37, s37, s1
	s_delay_alu instid0(SALU_CYCLE_1) | instskip(NEXT) | instid1(SALU_CYCLE_1)
	s_mul_hi_u32 s29, ttmp9, s37
	s_mul_i32 s37, s29, s36
	s_add_co_i32 s38, s29, 1
	s_sub_co_i32 s37, ttmp9, s37
	s_delay_alu instid0(SALU_CYCLE_1)
	s_sub_co_i32 s39, s37, s36
	s_cmp_ge_u32 s37, s36
	s_cselect_b32 s29, s38, s29
	s_cselect_b32 s37, s39, s37
	s_add_co_i32 s38, s29, 1
	s_cmp_ge_u32 s37, s36
	s_cselect_b32 s29, s38, s29
	s_lshl_b64 s[12:13], s[12:13], 4
	v_lshl_add_u32 v1, s29, 6, v0
	s_lshl_b64 s[20:21], s[20:21], 4
	s_mul_i32 s29, s29, s36
	s_add_nc_u64 s[10:11], s[10:11], s[12:13]
	s_add_nc_u64 s[12:13], s[18:19], s[20:21]
	s_wait_alu 0xfffe
	s_sub_co_i32 s20, ttmp9, s29
	v_or_b32_e32 v15, v1, v2
	v_lshl_add_u32 v0, s20, 5, v2
	v_ashrrev_i32_e32 v8, 31, v1
	s_wait_kmcnt 0x0
	s_lshl_b64 s[4:5], s[4:5], 4
	v_mul_lo_u32 v16, s15, v1
	v_mad_co_u64_u32 v[4:5], null, s22, v15, 0
	v_mad_co_u64_u32 v[6:7], null, s6, v0, 0
	v_mul_lo_u32 v19, s14, v8
	s_add_nc_u64 s[18:19], s[2:3], s[4:5]
	v_cmp_gt_i32_e64 s2, s35, v1
	v_or_b32_e32 v17, 1, v1
	v_mul_lo_u32 v18, s7, v0
	v_cmp_gt_i32_e64 s3, s34, v0
	v_mad_co_u64_u32 v[8:9], null, s23, v15, v[5:6]
	s_delay_alu instid0(VALU_DEP_4)
	v_mul_lo_u32 v21, s15, v17
	v_mad_co_u64_u32 v[10:11], null, s14, v17, 0
	v_cmp_gt_u32_e64 s4, s35, v15
	v_cmp_gt_i32_e64 s5, s35, v17
	s_mov_b32 s29, 0
	v_mov_b32_e32 v5, v8
	v_lshlrev_b32_e32 v3, 4, v2
	v_cmp_gt_u32_e64 s1, 2, v2
	v_add3_u32 v11, v11, v19, v21
	v_mov_b32_e32 v21, 0
	s_delay_alu instid0(VALU_DEP_4) | instskip(SKIP_4) | instid1(VALU_DEP_2)
	v_add_nc_u32_e32 v13, 0x400, v3
	v_add_nc_u32_e32 v14, v12, v3
	v_mad_co_u64_u32 v[2:3], null, s14, v1, 0
	v_ashrrev_i32_e32 v1, 31, v0
	v_lshlrev_b64_e32 v[10:11], 4, v[10:11]
	v_mul_lo_u32 v20, s6, v1
	v_lshlrev_b64_e32 v[0:1], 4, v[0:1]
	v_add3_u32 v3, v3, v19, v16
	s_delay_alu instid0(VALU_DEP_2) | instskip(NEXT) | instid1(VALU_DEP_4)
	v_add_co_u32 v15, vcc_lo, s10, v0
	v_add3_u32 v7, v7, v20, v18
	s_delay_alu instid0(VALU_DEP_4) | instskip(SKIP_2) | instid1(VALU_DEP_4)
	v_add_co_ci_u32_e64 v16, null, s11, v1, vcc_lo
	v_lshlrev_b64_e32 v[0:1], 4, v[4:5]
	v_lshlrev_b64_e32 v[8:9], 4, v[2:3]
	;; [unrolled: 1-line block ×3, first 2 shown]
	s_delay_alu instid0(VALU_DEP_1) | instskip(SKIP_1) | instid1(VALU_DEP_2)
	v_add_co_u32 v17, vcc_lo, s18, v6
	s_wait_alu 0xfffd
	v_add_co_ci_u32_e64 v18, null, s19, v7, vcc_lo
	v_add_co_u32 v19, vcc_lo, s12, v0
	s_wait_alu 0xfffd
	v_add_co_ci_u32_e64 v20, null, s13, v1, vcc_lo
	s_branch .LBB26_4
.LBB26_2:                               ;   in Loop: Header=BB26_4 Depth=1
	s_wait_alu 0xfffe
	s_or_b32 exec_lo, exec_lo, s6
.LBB26_3:                               ;   in Loop: Header=BB26_4 Depth=1
	s_add_co_i32 s28, s28, 0x10000
	s_wait_alu 0xfffe
	s_cmp_lt_u32 s28, s33
	s_cbranch_scc0 .LBB26_18
.LBB26_4:                               ; =>This Inner Loop Header: Depth=1
	s_wait_alu 0xfffe
	s_mul_u64 s[6:7], s[26:27], s[28:29]
	s_wait_alu 0xfffe
	s_lshl_b64 s[6:7], s[6:7], 4
	s_wait_alu 0xfffe
	s_add_nc_u64 s[6:7], s[24:25], s[6:7]
	global_load_b128 v[0:3], v21, s[6:7]
	s_wait_loadcnt 0x0
	v_cmp_neq_f64_e32 vcc_lo, 0, v[0:1]
	v_cmp_neq_f64_e64 s6, 0, v[2:3]
	s_wait_alu 0xfffe
	s_or_b32 s6, vcc_lo, s6
	s_wait_alu 0xfffe
	s_and_not1_b32 vcc_lo, exec_lo, s6
	s_wait_alu 0xfffe
	s_cbranch_vccnz .LBB26_3
; %bb.5:                                ;   in Loop: Header=BB26_4 Depth=1
	s_and_saveexec_b32 s6, s0
	s_cbranch_execz .LBB26_9
; %bb.6:                                ;   in Loop: Header=BB26_4 Depth=1
	v_mov_b32_e32 v4, 0
	v_dual_mov_b32 v5, 0 :: v_dual_mov_b32 v6, 0
	v_mov_b32_e32 v7, 0
	s_and_saveexec_b32 s7, s3
	s_cbranch_execz .LBB26_8
; %bb.7:                                ;   in Loop: Header=BB26_4 Depth=1
	s_mul_u64 s[10:11], s[16:17], s[28:29]
	s_wait_alu 0xfffe
	s_lshl_b64 s[10:11], s[10:11], 4
	s_wait_alu 0xfffe
	v_add_co_u32 v4, vcc_lo, v17, s10
	s_wait_alu 0xfffd
	v_add_co_ci_u32_e64 v5, null, s11, v18, vcc_lo
	global_load_b128 v[4:7], v[4:5], off
.LBB26_8:                               ;   in Loop: Header=BB26_4 Depth=1
	s_wait_alu 0xfffe
	s_or_b32 exec_lo, exec_lo, s7
	s_wait_loadcnt 0x0
	ds_store_b128 v13, v[4:7]
.LBB26_9:                               ;   in Loop: Header=BB26_4 Depth=1
	s_wait_alu 0xfffe
	s_or_b32 exec_lo, exec_lo, s6
	s_and_saveexec_b32 s6, s1
	s_cbranch_execz .LBB26_13
; %bb.10:                               ;   in Loop: Header=BB26_4 Depth=1
	v_mov_b32_e32 v4, 0
	v_dual_mov_b32 v5, 0 :: v_dual_mov_b32 v6, 0
	v_mov_b32_e32 v7, 0
	s_and_saveexec_b32 s7, s4
	s_cbranch_execz .LBB26_12
; %bb.11:                               ;   in Loop: Header=BB26_4 Depth=1
	s_mul_u64 s[10:11], s[8:9], s[28:29]
	s_wait_alu 0xfffe
	s_lshl_b64 s[10:11], s[10:11], 4
	s_wait_alu 0xfffe
	v_add_co_u32 v4, vcc_lo, v19, s10
	s_wait_alu 0xfffd
	v_add_co_ci_u32_e64 v5, null, s11, v20, vcc_lo
	global_load_b128 v[4:7], v[4:5], off
.LBB26_12:                              ;   in Loop: Header=BB26_4 Depth=1
	s_wait_alu 0xfffe
	s_or_b32 exec_lo, exec_lo, s7
	s_wait_loadcnt 0x0
	ds_store_b128 v14, v[4:7]
.LBB26_13:                              ;   in Loop: Header=BB26_4 Depth=1
	s_wait_alu 0xfffe
	s_or_b32 exec_lo, exec_lo, s6
	s_wait_dscnt 0x0
	s_barrier_signal -1
	s_barrier_wait -1
	global_inv scope:SCOPE_SE
	s_and_saveexec_b32 s6, s3
	s_cbranch_execz .LBB26_2
; %bb.14:                               ;   in Loop: Header=BB26_4 Depth=1
	ds_load_b128 v[4:7], v13
	s_mul_u64 s[10:11], s[30:31], s[28:29]
	s_wait_alu 0xfffe
	s_lshl_b64 s[10:11], s[10:11], 4
	s_wait_dscnt 0x0
	v_mul_f64_e32 v[22:23], v[2:3], v[6:7]
	v_mul_f64_e32 v[6:7], v[0:1], v[6:7]
	s_delay_alu instid0(VALU_DEP_2) | instskip(NEXT) | instid1(VALU_DEP_2)
	v_fma_f64 v[0:1], v[0:1], v[4:5], -v[22:23]
	v_fma_f64 v[2:3], v[2:3], v[4:5], v[6:7]
	s_wait_alu 0xfffe
	v_add_co_u32 v4, vcc_lo, v15, s10
	s_wait_alu 0xfffd
	v_add_co_ci_u32_e64 v5, null, s11, v16, vcc_lo
	s_and_saveexec_b32 s7, s2
	s_cbranch_execz .LBB26_16
; %bb.15:                               ;   in Loop: Header=BB26_4 Depth=1
	v_add_co_u32 v6, vcc_lo, v4, v8
	s_wait_alu 0xfffd
	v_add_co_ci_u32_e64 v7, null, v5, v9, vcc_lo
	ds_load_b128 v[26:29], v12
	global_load_b128 v[22:25], v[6:7], off
	s_wait_dscnt 0x0
	v_mul_f64_e32 v[30:31], v[2:3], v[28:29]
	v_mul_f64_e32 v[28:29], v[0:1], v[28:29]
	s_delay_alu instid0(VALU_DEP_2) | instskip(NEXT) | instid1(VALU_DEP_2)
	v_fma_f64 v[30:31], v[0:1], v[26:27], -v[30:31]
	v_fma_f64 v[26:27], v[2:3], v[26:27], v[28:29]
	s_wait_loadcnt 0x0
	s_delay_alu instid0(VALU_DEP_2) | instskip(NEXT) | instid1(VALU_DEP_2)
	v_add_f64_e32 v[22:23], v[22:23], v[30:31]
	v_add_f64_e32 v[24:25], v[26:27], v[24:25]
	global_store_b128 v[6:7], v[22:25], off
.LBB26_16:                              ;   in Loop: Header=BB26_4 Depth=1
	s_wait_alu 0xfffe
	s_or_b32 exec_lo, exec_lo, s7
	s_delay_alu instid0(SALU_CYCLE_1)
	s_and_b32 exec_lo, exec_lo, s5
	s_cbranch_execz .LBB26_2
; %bb.17:                               ;   in Loop: Header=BB26_4 Depth=1
	v_add_co_u32 v26, vcc_lo, v4, v10
	s_wait_alu 0xfffd
	v_add_co_ci_u32_e64 v27, null, v5, v11, vcc_lo
	ds_load_b128 v[22:25], v12 offset:16
	global_load_b128 v[4:7], v[26:27], off
	s_wait_dscnt 0x0
	v_mul_f64_e32 v[28:29], v[2:3], v[24:25]
	v_mul_f64_e32 v[24:25], v[0:1], v[24:25]
	s_delay_alu instid0(VALU_DEP_2) | instskip(NEXT) | instid1(VALU_DEP_2)
	v_fma_f64 v[0:1], v[0:1], v[22:23], -v[28:29]
	v_fma_f64 v[2:3], v[2:3], v[22:23], v[24:25]
	s_wait_loadcnt 0x0
	s_delay_alu instid0(VALU_DEP_2) | instskip(NEXT) | instid1(VALU_DEP_2)
	v_add_f64_e32 v[0:1], v[4:5], v[0:1]
	v_add_f64_e32 v[2:3], v[2:3], v[6:7]
	global_store_b128 v[26:27], v[0:3], off
	s_branch .LBB26_2
.LBB26_18:
	s_endpgm
	.section	.rodata,"a",@progbits
	.p2align	6, 0x0
	.amdhsa_kernel _ZL18rocblas_ger_kernelILi32ELi32ELi2ELb0E19rocblas_complex_numIdEPKS1_S3_PS1_EviiT4_lT5_lllS6_lllT6_lmli
		.amdhsa_group_segment_fixed_size 1536
		.amdhsa_private_segment_fixed_size 0
		.amdhsa_kernarg_size 124
		.amdhsa_user_sgpr_count 2
		.amdhsa_user_sgpr_dispatch_ptr 0
		.amdhsa_user_sgpr_queue_ptr 0
		.amdhsa_user_sgpr_kernarg_segment_ptr 1
		.amdhsa_user_sgpr_dispatch_id 0
		.amdhsa_user_sgpr_private_segment_size 0
		.amdhsa_wavefront_size32 1
		.amdhsa_uses_dynamic_stack 0
		.amdhsa_enable_private_segment 0
		.amdhsa_system_sgpr_workgroup_id_x 1
		.amdhsa_system_sgpr_workgroup_id_y 0
		.amdhsa_system_sgpr_workgroup_id_z 1
		.amdhsa_system_sgpr_workgroup_info 0
		.amdhsa_system_vgpr_workitem_id 1
		.amdhsa_next_free_vgpr 32
		.amdhsa_next_free_sgpr 40
		.amdhsa_reserve_vcc 1
		.amdhsa_float_round_mode_32 0
		.amdhsa_float_round_mode_16_64 0
		.amdhsa_float_denorm_mode_32 3
		.amdhsa_float_denorm_mode_16_64 3
		.amdhsa_fp16_overflow 0
		.amdhsa_workgroup_processor_mode 1
		.amdhsa_memory_ordered 1
		.amdhsa_forward_progress 1
		.amdhsa_inst_pref_size 10
		.amdhsa_round_robin_scheduling 0
		.amdhsa_exception_fp_ieee_invalid_op 0
		.amdhsa_exception_fp_denorm_src 0
		.amdhsa_exception_fp_ieee_div_zero 0
		.amdhsa_exception_fp_ieee_overflow 0
		.amdhsa_exception_fp_ieee_underflow 0
		.amdhsa_exception_fp_ieee_inexact 0
		.amdhsa_exception_int_div_zero 0
	.end_amdhsa_kernel
	.section	.text._ZL18rocblas_ger_kernelILi32ELi32ELi2ELb0E19rocblas_complex_numIdEPKS1_S3_PS1_EviiT4_lT5_lllS6_lllT6_lmli,"axG",@progbits,_ZL18rocblas_ger_kernelILi32ELi32ELi2ELb0E19rocblas_complex_numIdEPKS1_S3_PS1_EviiT4_lT5_lllS6_lllT6_lmli,comdat
.Lfunc_end26:
	.size	_ZL18rocblas_ger_kernelILi32ELi32ELi2ELb0E19rocblas_complex_numIdEPKS1_S3_PS1_EviiT4_lT5_lllS6_lllT6_lmli, .Lfunc_end26-_ZL18rocblas_ger_kernelILi32ELi32ELi2ELb0E19rocblas_complex_numIdEPKS1_S3_PS1_EviiT4_lT5_lllS6_lllT6_lmli
                                        ; -- End function
	.set _ZL18rocblas_ger_kernelILi32ELi32ELi2ELb0E19rocblas_complex_numIdEPKS1_S3_PS1_EviiT4_lT5_lllS6_lllT6_lmli.num_vgpr, 32
	.set _ZL18rocblas_ger_kernelILi32ELi32ELi2ELb0E19rocblas_complex_numIdEPKS1_S3_PS1_EviiT4_lT5_lllS6_lllT6_lmli.num_agpr, 0
	.set _ZL18rocblas_ger_kernelILi32ELi32ELi2ELb0E19rocblas_complex_numIdEPKS1_S3_PS1_EviiT4_lT5_lllS6_lllT6_lmli.numbered_sgpr, 40
	.set _ZL18rocblas_ger_kernelILi32ELi32ELi2ELb0E19rocblas_complex_numIdEPKS1_S3_PS1_EviiT4_lT5_lllS6_lllT6_lmli.num_named_barrier, 0
	.set _ZL18rocblas_ger_kernelILi32ELi32ELi2ELb0E19rocblas_complex_numIdEPKS1_S3_PS1_EviiT4_lT5_lllS6_lllT6_lmli.private_seg_size, 0
	.set _ZL18rocblas_ger_kernelILi32ELi32ELi2ELb0E19rocblas_complex_numIdEPKS1_S3_PS1_EviiT4_lT5_lllS6_lllT6_lmli.uses_vcc, 1
	.set _ZL18rocblas_ger_kernelILi32ELi32ELi2ELb0E19rocblas_complex_numIdEPKS1_S3_PS1_EviiT4_lT5_lllS6_lllT6_lmli.uses_flat_scratch, 0
	.set _ZL18rocblas_ger_kernelILi32ELi32ELi2ELb0E19rocblas_complex_numIdEPKS1_S3_PS1_EviiT4_lT5_lllS6_lllT6_lmli.has_dyn_sized_stack, 0
	.set _ZL18rocblas_ger_kernelILi32ELi32ELi2ELb0E19rocblas_complex_numIdEPKS1_S3_PS1_EviiT4_lT5_lllS6_lllT6_lmli.has_recursion, 0
	.set _ZL18rocblas_ger_kernelILi32ELi32ELi2ELb0E19rocblas_complex_numIdEPKS1_S3_PS1_EviiT4_lT5_lllS6_lllT6_lmli.has_indirect_call, 0
	.section	.AMDGPU.csdata,"",@progbits
; Kernel info:
; codeLenInByte = 1268
; TotalNumSgprs: 42
; NumVgprs: 32
; ScratchSize: 0
; MemoryBound: 1
; FloatMode: 240
; IeeeMode: 1
; LDSByteSize: 1536 bytes/workgroup (compile time only)
; SGPRBlocks: 0
; VGPRBlocks: 3
; NumSGPRsForWavesPerEU: 42
; NumVGPRsForWavesPerEU: 32
; Occupancy: 16
; WaveLimiterHint : 0
; COMPUTE_PGM_RSRC2:SCRATCH_EN: 0
; COMPUTE_PGM_RSRC2:USER_SGPR: 2
; COMPUTE_PGM_RSRC2:TRAP_HANDLER: 0
; COMPUTE_PGM_RSRC2:TGID_X_EN: 1
; COMPUTE_PGM_RSRC2:TGID_Y_EN: 0
; COMPUTE_PGM_RSRC2:TGID_Z_EN: 1
; COMPUTE_PGM_RSRC2:TIDIG_COMP_CNT: 1
	.section	.text._ZL18rocblas_ger_kernelILi32ELi32ELi2ELb0E19rocblas_complex_numIdES1_PKS1_PS1_EviiT4_lT5_lllS6_lllT6_lmli,"axG",@progbits,_ZL18rocblas_ger_kernelILi32ELi32ELi2ELb0E19rocblas_complex_numIdES1_PKS1_PS1_EviiT4_lT5_lllS6_lllT6_lmli,comdat
	.globl	_ZL18rocblas_ger_kernelILi32ELi32ELi2ELb0E19rocblas_complex_numIdES1_PKS1_PS1_EviiT4_lT5_lllS6_lllT6_lmli ; -- Begin function _ZL18rocblas_ger_kernelILi32ELi32ELi2ELb0E19rocblas_complex_numIdES1_PKS1_PS1_EviiT4_lT5_lllS6_lllT6_lmli
	.p2align	8
	.type	_ZL18rocblas_ger_kernelILi32ELi32ELi2ELb0E19rocblas_complex_numIdES1_PKS1_PS1_EviiT4_lT5_lllS6_lllT6_lmli,@function
_ZL18rocblas_ger_kernelILi32ELi32ELi2ELb0E19rocblas_complex_numIdES1_PKS1_PS1_EviiT4_lT5_lllS6_lllT6_lmli: ; @_ZL18rocblas_ger_kernelILi32ELi32ELi2ELb0E19rocblas_complex_numIdES1_PKS1_PS1_EviiT4_lT5_lllS6_lllT6_lmli
; %bb.0:
	s_load_b32 s33, s[0:1], 0x80
	s_lshr_b32 s28, ttmp7, 16
	s_wait_kmcnt 0x0
	s_cmp_ge_u32 s28, s33
	s_cbranch_scc1 .LBB27_18
; %bb.1:
	s_clause 0x3
	s_load_b64 s[34:35], s[0:1], 0x0
	s_load_b128 s[24:27], s[0:1], 0x8
	s_load_b256 s[8:15], s[0:1], 0x58
	s_load_b256 s[16:23], s[0:1], 0x38
	v_and_b32_e32 v2, 0x3ff, v0
	s_wait_kmcnt 0x0
	s_add_co_i32 s2, s34, -1
	v_cmp_neq_f64_e64 s40, s[24:25], 0
	s_ashr_i32 s3, s2, 31
	s_delay_alu instid0(SALU_CYCLE_1) | instskip(NEXT) | instid1(SALU_CYCLE_1)
	s_lshr_b32 s3, s3, 27
	s_add_co_i32 s2, s2, s3
	s_delay_alu instid0(SALU_CYCLE_1) | instskip(NEXT) | instid1(SALU_CYCLE_1)
	s_ashr_i32 s29, s2, 5
	s_add_co_i32 s36, s29, 1
	s_not_b32 s29, s29
	s_cvt_f32_u32 s2, s36
	s_delay_alu instid0(SALU_CYCLE_3) | instskip(NEXT) | instid1(TRANS32_DEP_1)
	v_rcp_iflag_f32_e32 v1, s2
	v_readfirstlane_b32 s2, v1
	v_bfe_u32 v1, v0, 10, 10
	s_mul_f32 s37, s2, 0x4f7ffffe
	s_clause 0x2
	s_load_b64 s[2:3], s[0:1], 0x20
	s_load_b128 s[4:7], s[0:1], 0x28
	s_load_b64 s[30:31], s[0:1], 0x78
	v_lshlrev_b32_e32 v0, 1, v1
	v_cmp_eq_u32_e64 s0, 0, v1
	s_cvt_u32_f32 s1, s37
	v_lshlrev_b32_e32 v8, 5, v1
	s_delay_alu instid0(SALU_CYCLE_2) | instskip(NEXT) | instid1(SALU_CYCLE_1)
	s_mul_i32 s29, s29, s1
	s_mul_hi_u32 s29, s1, s29
	s_delay_alu instid0(SALU_CYCLE_1) | instskip(SKIP_2) | instid1(SALU_CYCLE_1)
	s_add_co_i32 s29, s1, s29
	v_cmp_gt_u32_e64 s1, 2, v2
	s_mul_hi_u32 s29, ttmp9, s29
	s_mul_i32 s37, s29, s36
	s_add_co_i32 s38, s29, 1
	s_sub_co_i32 s37, ttmp9, s37
	s_delay_alu instid0(SALU_CYCLE_1)
	s_sub_co_i32 s39, s37, s36
	s_cmp_ge_u32 s37, s36
	s_cselect_b32 s29, s38, s29
	s_cselect_b32 s37, s39, s37
	s_add_co_i32 s38, s29, 1
	s_cmp_ge_u32 s37, s36
	v_cmp_neq_f64_e64 s37, s[26:27], 0
	s_cselect_b32 s29, s38, s29
	s_lshl_b64 s[12:13], s[12:13], 4
	v_lshl_add_u32 v1, s29, 6, v0
	s_lshl_b64 s[20:21], s[20:21], 4
	s_mul_i32 s29, s29, s36
	s_add_nc_u64 s[10:11], s[10:11], s[12:13]
	s_add_nc_u64 s[12:13], s[18:19], s[20:21]
	v_or_b32_e32 v11, v1, v2
	v_ashrrev_i32_e32 v6, 31, v1
	s_wait_alu 0xfffe
	s_sub_co_i32 s20, ttmp9, s29
	s_wait_kmcnt 0x0
	s_lshl_b64 s[4:5], s[4:5], 4
	v_lshl_add_u32 v0, s20, 5, v2
	v_mad_co_u64_u32 v[13:14], null, s22, v11, 0
	v_lshlrev_b32_e32 v3, 4, v2
	v_mul_lo_u32 v19, s14, v6
	s_add_nc_u64 s[18:19], s[2:3], s[4:5]
	v_cmp_gt_i32_e64 s2, s35, v1
	v_mul_lo_u32 v12, s15, v1
	v_or_b32_e32 v17, 1, v1
	v_mov_b32_e32 v6, v14
	v_add_nc_u32_e32 v10, v8, v3
	v_mul_lo_u32 v18, s7, v0
	v_mad_co_u64_u32 v[4:5], null, s6, v0, 0
	s_delay_alu instid0(VALU_DEP_4)
	v_mad_co_u64_u32 v[6:7], null, s23, v11, v[6:7]
	v_add_nc_u32_e32 v9, 0x400, v3
	v_mad_co_u64_u32 v[2:3], null, s14, v1, 0
	v_ashrrev_i32_e32 v1, 31, v0
	v_mul_lo_u32 v14, s15, v17
	v_mad_co_u64_u32 v[15:16], null, s14, v17, 0
	v_cmp_gt_i32_e64 s3, s34, v0
	s_delay_alu instid0(VALU_DEP_4)
	v_mul_lo_u32 v20, s6, v1
	v_lshlrev_b64_e32 v[0:1], 4, v[0:1]
	v_cmp_gt_u32_e64 s4, s35, v11
	v_cmp_gt_i32_e64 s5, s35, v17
	v_add3_u32 v3, v3, v19, v12
	v_add3_u32 v16, v16, v19, v14
	v_mov_b32_e32 v14, v6
	v_add_co_u32 v11, vcc_lo, s10, v0
	v_add3_u32 v5, v5, v20, v18
	v_add_co_ci_u32_e64 v12, null, s11, v1, vcc_lo
	s_delay_alu instid0(VALU_DEP_4) | instskip(SKIP_1) | instid1(VALU_DEP_4)
	v_lshlrev_b64_e32 v[0:1], 4, v[13:14]
	v_lshlrev_b64_e32 v[6:7], 4, v[15:16]
	;; [unrolled: 1-line block ×4, first 2 shown]
	s_or_b32 s6, s40, s37
	s_mov_b32 s29, 0
	s_delay_alu instid0(VALU_DEP_2)
	v_add_co_u32 v13, vcc_lo, s18, v17
	s_wait_alu 0xfffd
	v_add_co_ci_u32_e64 v14, null, s19, v18, vcc_lo
	v_add_co_u32 v15, vcc_lo, s12, v0
	s_wait_alu 0xfffd
	v_add_co_ci_u32_e64 v16, null, s13, v1, vcc_lo
	s_branch .LBB27_4
.LBB27_2:                               ;   in Loop: Header=BB27_4 Depth=1
	s_wait_alu 0xfffe
	s_or_b32 exec_lo, exec_lo, s7
.LBB27_3:                               ;   in Loop: Header=BB27_4 Depth=1
	s_add_co_i32 s28, s28, 0x10000
	s_wait_alu 0xfffe
	s_cmp_lt_u32 s28, s33
	s_cbranch_scc0 .LBB27_18
.LBB27_4:                               ; =>This Inner Loop Header: Depth=1
	s_wait_alu 0xfffe
	s_and_not1_b32 vcc_lo, exec_lo, s6
	s_wait_alu 0xfffe
	s_cbranch_vccnz .LBB27_3
; %bb.5:                                ;   in Loop: Header=BB27_4 Depth=1
	s_and_saveexec_b32 s7, s0
	s_cbranch_execz .LBB27_9
; %bb.6:                                ;   in Loop: Header=BB27_4 Depth=1
	v_mov_b32_e32 v0, 0
	v_dual_mov_b32 v1, 0 :: v_dual_mov_b32 v2, 0
	v_mov_b32_e32 v3, 0
	s_and_saveexec_b32 s10, s3
	s_cbranch_execz .LBB27_8
; %bb.7:                                ;   in Loop: Header=BB27_4 Depth=1
	s_mul_u64 s[12:13], s[16:17], s[28:29]
	s_wait_alu 0xfffe
	s_lshl_b64 s[12:13], s[12:13], 4
	s_wait_alu 0xfffe
	v_add_co_u32 v0, vcc_lo, v13, s12
	s_wait_alu 0xfffd
	v_add_co_ci_u32_e64 v1, null, s13, v14, vcc_lo
	global_load_b128 v[0:3], v[0:1], off
.LBB27_8:                               ;   in Loop: Header=BB27_4 Depth=1
	s_wait_alu 0xfffe
	s_or_b32 exec_lo, exec_lo, s10
	s_wait_loadcnt 0x0
	ds_store_b128 v9, v[0:3]
.LBB27_9:                               ;   in Loop: Header=BB27_4 Depth=1
	s_wait_alu 0xfffe
	s_or_b32 exec_lo, exec_lo, s7
	s_and_saveexec_b32 s7, s1
	s_cbranch_execz .LBB27_13
; %bb.10:                               ;   in Loop: Header=BB27_4 Depth=1
	v_mov_b32_e32 v0, 0
	v_dual_mov_b32 v1, 0 :: v_dual_mov_b32 v2, 0
	v_mov_b32_e32 v3, 0
	s_and_saveexec_b32 s10, s4
	s_cbranch_execz .LBB27_12
; %bb.11:                               ;   in Loop: Header=BB27_4 Depth=1
	s_mul_u64 s[12:13], s[8:9], s[28:29]
	s_wait_alu 0xfffe
	s_lshl_b64 s[12:13], s[12:13], 4
	s_wait_alu 0xfffe
	v_add_co_u32 v0, vcc_lo, v15, s12
	s_wait_alu 0xfffd
	v_add_co_ci_u32_e64 v1, null, s13, v16, vcc_lo
	global_load_b128 v[0:3], v[0:1], off
.LBB27_12:                              ;   in Loop: Header=BB27_4 Depth=1
	s_wait_alu 0xfffe
	s_or_b32 exec_lo, exec_lo, s10
	s_wait_loadcnt 0x0
	ds_store_b128 v10, v[0:3]
.LBB27_13:                              ;   in Loop: Header=BB27_4 Depth=1
	s_wait_alu 0xfffe
	s_or_b32 exec_lo, exec_lo, s7
	s_wait_dscnt 0x0
	s_barrier_signal -1
	s_barrier_wait -1
	global_inv scope:SCOPE_SE
	s_and_saveexec_b32 s7, s3
	s_cbranch_execz .LBB27_2
; %bb.14:                               ;   in Loop: Header=BB27_4 Depth=1
	ds_load_b128 v[17:20], v9
	s_mul_u64 s[10:11], s[30:31], s[28:29]
	s_wait_alu 0xfffe
	s_lshl_b64 s[10:11], s[10:11], 4
	s_wait_dscnt 0x0
	v_mul_f64_e32 v[0:1], s[26:27], v[19:20]
	v_mul_f64_e32 v[2:3], s[24:25], v[19:20]
	s_delay_alu instid0(VALU_DEP_2) | instskip(NEXT) | instid1(VALU_DEP_2)
	v_fma_f64 v[0:1], s[24:25], v[17:18], -v[0:1]
	v_fma_f64 v[2:3], s[26:27], v[17:18], v[2:3]
	s_wait_alu 0xfffe
	v_add_co_u32 v17, vcc_lo, v11, s10
	s_wait_alu 0xfffd
	v_add_co_ci_u32_e64 v18, null, s11, v12, vcc_lo
	s_and_saveexec_b32 s10, s2
	s_cbranch_execz .LBB27_16
; %bb.15:                               ;   in Loop: Header=BB27_4 Depth=1
	v_add_co_u32 v27, vcc_lo, v17, v4
	s_wait_alu 0xfffd
	v_add_co_ci_u32_e64 v28, null, v18, v5, vcc_lo
	ds_load_b128 v[23:26], v8
	global_load_b128 v[19:22], v[27:28], off
	s_wait_dscnt 0x0
	v_mul_f64_e32 v[29:30], v[2:3], v[25:26]
	v_mul_f64_e32 v[25:26], v[0:1], v[25:26]
	s_delay_alu instid0(VALU_DEP_2) | instskip(NEXT) | instid1(VALU_DEP_2)
	v_fma_f64 v[29:30], v[0:1], v[23:24], -v[29:30]
	v_fma_f64 v[23:24], v[2:3], v[23:24], v[25:26]
	s_wait_loadcnt 0x0
	s_delay_alu instid0(VALU_DEP_2) | instskip(NEXT) | instid1(VALU_DEP_2)
	v_add_f64_e32 v[19:20], v[19:20], v[29:30]
	v_add_f64_e32 v[21:22], v[23:24], v[21:22]
	global_store_b128 v[27:28], v[19:22], off
.LBB27_16:                              ;   in Loop: Header=BB27_4 Depth=1
	s_wait_alu 0xfffe
	s_or_b32 exec_lo, exec_lo, s10
	s_delay_alu instid0(SALU_CYCLE_1)
	s_and_b32 exec_lo, exec_lo, s5
	s_cbranch_execz .LBB27_2
; %bb.17:                               ;   in Loop: Header=BB27_4 Depth=1
	v_add_co_u32 v25, vcc_lo, v17, v6
	s_wait_alu 0xfffd
	v_add_co_ci_u32_e64 v26, null, v18, v7, vcc_lo
	ds_load_b128 v[21:24], v8 offset:16
	global_load_b128 v[17:20], v[25:26], off
	s_wait_dscnt 0x0
	v_mul_f64_e32 v[27:28], v[2:3], v[23:24]
	v_mul_f64_e32 v[23:24], v[0:1], v[23:24]
	s_delay_alu instid0(VALU_DEP_2) | instskip(NEXT) | instid1(VALU_DEP_2)
	v_fma_f64 v[0:1], v[0:1], v[21:22], -v[27:28]
	v_fma_f64 v[2:3], v[2:3], v[21:22], v[23:24]
	s_wait_loadcnt 0x0
	s_delay_alu instid0(VALU_DEP_2) | instskip(NEXT) | instid1(VALU_DEP_2)
	v_add_f64_e32 v[0:1], v[17:18], v[0:1]
	v_add_f64_e32 v[2:3], v[2:3], v[19:20]
	global_store_b128 v[25:26], v[0:3], off
	s_branch .LBB27_2
.LBB27_18:
	s_endpgm
	.section	.rodata,"a",@progbits
	.p2align	6, 0x0
	.amdhsa_kernel _ZL18rocblas_ger_kernelILi32ELi32ELi2ELb0E19rocblas_complex_numIdES1_PKS1_PS1_EviiT4_lT5_lllS6_lllT6_lmli
		.amdhsa_group_segment_fixed_size 1536
		.amdhsa_private_segment_fixed_size 0
		.amdhsa_kernarg_size 132
		.amdhsa_user_sgpr_count 2
		.amdhsa_user_sgpr_dispatch_ptr 0
		.amdhsa_user_sgpr_queue_ptr 0
		.amdhsa_user_sgpr_kernarg_segment_ptr 1
		.amdhsa_user_sgpr_dispatch_id 0
		.amdhsa_user_sgpr_private_segment_size 0
		.amdhsa_wavefront_size32 1
		.amdhsa_uses_dynamic_stack 0
		.amdhsa_enable_private_segment 0
		.amdhsa_system_sgpr_workgroup_id_x 1
		.amdhsa_system_sgpr_workgroup_id_y 0
		.amdhsa_system_sgpr_workgroup_id_z 1
		.amdhsa_system_sgpr_workgroup_info 0
		.amdhsa_system_vgpr_workitem_id 1
		.amdhsa_next_free_vgpr 31
		.amdhsa_next_free_sgpr 41
		.amdhsa_reserve_vcc 1
		.amdhsa_float_round_mode_32 0
		.amdhsa_float_round_mode_16_64 0
		.amdhsa_float_denorm_mode_32 3
		.amdhsa_float_denorm_mode_16_64 3
		.amdhsa_fp16_overflow 0
		.amdhsa_workgroup_processor_mode 1
		.amdhsa_memory_ordered 1
		.amdhsa_forward_progress 1
		.amdhsa_inst_pref_size 10
		.amdhsa_round_robin_scheduling 0
		.amdhsa_exception_fp_ieee_invalid_op 0
		.amdhsa_exception_fp_denorm_src 0
		.amdhsa_exception_fp_ieee_div_zero 0
		.amdhsa_exception_fp_ieee_overflow 0
		.amdhsa_exception_fp_ieee_underflow 0
		.amdhsa_exception_fp_ieee_inexact 0
		.amdhsa_exception_int_div_zero 0
	.end_amdhsa_kernel
	.section	.text._ZL18rocblas_ger_kernelILi32ELi32ELi2ELb0E19rocblas_complex_numIdES1_PKS1_PS1_EviiT4_lT5_lllS6_lllT6_lmli,"axG",@progbits,_ZL18rocblas_ger_kernelILi32ELi32ELi2ELb0E19rocblas_complex_numIdES1_PKS1_PS1_EviiT4_lT5_lllS6_lllT6_lmli,comdat
.Lfunc_end27:
	.size	_ZL18rocblas_ger_kernelILi32ELi32ELi2ELb0E19rocblas_complex_numIdES1_PKS1_PS1_EviiT4_lT5_lllS6_lllT6_lmli, .Lfunc_end27-_ZL18rocblas_ger_kernelILi32ELi32ELi2ELb0E19rocblas_complex_numIdES1_PKS1_PS1_EviiT4_lT5_lllS6_lllT6_lmli
                                        ; -- End function
	.set _ZL18rocblas_ger_kernelILi32ELi32ELi2ELb0E19rocblas_complex_numIdES1_PKS1_PS1_EviiT4_lT5_lllS6_lllT6_lmli.num_vgpr, 31
	.set _ZL18rocblas_ger_kernelILi32ELi32ELi2ELb0E19rocblas_complex_numIdES1_PKS1_PS1_EviiT4_lT5_lllS6_lllT6_lmli.num_agpr, 0
	.set _ZL18rocblas_ger_kernelILi32ELi32ELi2ELb0E19rocblas_complex_numIdES1_PKS1_PS1_EviiT4_lT5_lllS6_lllT6_lmli.numbered_sgpr, 41
	.set _ZL18rocblas_ger_kernelILi32ELi32ELi2ELb0E19rocblas_complex_numIdES1_PKS1_PS1_EviiT4_lT5_lllS6_lllT6_lmli.num_named_barrier, 0
	.set _ZL18rocblas_ger_kernelILi32ELi32ELi2ELb0E19rocblas_complex_numIdES1_PKS1_PS1_EviiT4_lT5_lllS6_lllT6_lmli.private_seg_size, 0
	.set _ZL18rocblas_ger_kernelILi32ELi32ELi2ELb0E19rocblas_complex_numIdES1_PKS1_PS1_EviiT4_lT5_lllS6_lllT6_lmli.uses_vcc, 1
	.set _ZL18rocblas_ger_kernelILi32ELi32ELi2ELb0E19rocblas_complex_numIdES1_PKS1_PS1_EviiT4_lT5_lllS6_lllT6_lmli.uses_flat_scratch, 0
	.set _ZL18rocblas_ger_kernelILi32ELi32ELi2ELb0E19rocblas_complex_numIdES1_PKS1_PS1_EviiT4_lT5_lllS6_lllT6_lmli.has_dyn_sized_stack, 0
	.set _ZL18rocblas_ger_kernelILi32ELi32ELi2ELb0E19rocblas_complex_numIdES1_PKS1_PS1_EviiT4_lT5_lllS6_lllT6_lmli.has_recursion, 0
	.set _ZL18rocblas_ger_kernelILi32ELi32ELi2ELb0E19rocblas_complex_numIdES1_PKS1_PS1_EviiT4_lT5_lllS6_lllT6_lmli.has_indirect_call, 0
	.section	.AMDGPU.csdata,"",@progbits
; Kernel info:
; codeLenInByte = 1220
; TotalNumSgprs: 43
; NumVgprs: 31
; ScratchSize: 0
; MemoryBound: 1
; FloatMode: 240
; IeeeMode: 1
; LDSByteSize: 1536 bytes/workgroup (compile time only)
; SGPRBlocks: 0
; VGPRBlocks: 3
; NumSGPRsForWavesPerEU: 43
; NumVGPRsForWavesPerEU: 31
; Occupancy: 16
; WaveLimiterHint : 1
; COMPUTE_PGM_RSRC2:SCRATCH_EN: 0
; COMPUTE_PGM_RSRC2:USER_SGPR: 2
; COMPUTE_PGM_RSRC2:TRAP_HANDLER: 0
; COMPUTE_PGM_RSRC2:TGID_X_EN: 1
; COMPUTE_PGM_RSRC2:TGID_Y_EN: 0
; COMPUTE_PGM_RSRC2:TGID_Z_EN: 1
; COMPUTE_PGM_RSRC2:TIDIG_COMP_CNT: 1
	.section	.text._ZL34rocblas_ger_double_buffered_kernelILb1ELi64ELi16ELi2E19rocblas_complex_numIfE24rocblas_internal_val_ptrIS1_EPKS1_PS1_EvbiiT4_lT5_lllS8_lllT6_lmli,"axG",@progbits,_ZL34rocblas_ger_double_buffered_kernelILb1ELi64ELi16ELi2E19rocblas_complex_numIfE24rocblas_internal_val_ptrIS1_EPKS1_PS1_EvbiiT4_lT5_lllS8_lllT6_lmli,comdat
	.globl	_ZL34rocblas_ger_double_buffered_kernelILb1ELi64ELi16ELi2E19rocblas_complex_numIfE24rocblas_internal_val_ptrIS1_EPKS1_PS1_EvbiiT4_lT5_lllS8_lllT6_lmli ; -- Begin function _ZL34rocblas_ger_double_buffered_kernelILb1ELi64ELi16ELi2E19rocblas_complex_numIfE24rocblas_internal_val_ptrIS1_EPKS1_PS1_EvbiiT4_lT5_lllS8_lllT6_lmli
	.p2align	8
	.type	_ZL34rocblas_ger_double_buffered_kernelILb1ELi64ELi16ELi2E19rocblas_complex_numIfE24rocblas_internal_val_ptrIS1_EPKS1_PS1_EvbiiT4_lT5_lllS8_lllT6_lmli,@function
_ZL34rocblas_ger_double_buffered_kernelILb1ELi64ELi16ELi2E19rocblas_complex_numIfE24rocblas_internal_val_ptrIS1_EPKS1_PS1_EvbiiT4_lT5_lllS8_lllT6_lmli: ; @_ZL34rocblas_ger_double_buffered_kernelILb1ELi64ELi16ELi2E19rocblas_complex_numIfE24rocblas_internal_val_ptrIS1_EPKS1_PS1_EvbiiT4_lT5_lllS8_lllT6_lmli
; %bb.0:
	s_load_b32 s30, s[0:1], 0x80
	s_lshr_b32 s2, ttmp7, 16
	s_wait_kmcnt 0x0
	s_cmp_ge_u32 s2, s30
	s_cbranch_scc1 .LBB28_7
; %bb.1:
	v_lshrrev_b32_e32 v1, 4, v0
	s_clause 0x3
	s_load_b32 s31, s[0:1], 0x0
	s_load_b256 s[4:11], s[0:1], 0x58
	s_load_b256 s[12:19], s[0:1], 0x38
	s_load_b128 s[24:27], s[0:1], 0x28
	v_and_b32_e32 v2, 0x3ff, v0
	v_and_b32_e32 v9, 31, v0
	s_clause 0x1
	s_load_b64 s[34:35], s[0:1], 0x20
	s_load_b128 s[20:23], s[0:1], 0x10
	v_and_b32_e32 v1, 0xffc0, v1
	s_load_b64 s[28:29], s[0:1], 0x78
	v_or_b32_e32 v15, 32, v9
	s_mov_b32 s3, 0
	s_delay_alu instid0(VALU_DEP_2) | instskip(NEXT) | instid1(VALU_DEP_1)
	v_add_nc_u32_e32 v1, v1, v2
	v_lshrrev_b32_e32 v10, 4, v1
	s_wait_kmcnt 0x0
	s_bitcmp1_b32 s31, 0
	s_cselect_b32 s31, -1, 0
	s_delay_alu instid0(VALU_DEP_1) | instskip(SKIP_2) | instid1(VALU_DEP_3)
	v_and_b32_e32 v14, 0x1ffe, v10
	v_mad_co_u64_u32 v[2:3], null, s26, v9, 0
	v_mad_co_u64_u32 v[4:5], null, s26, v15, 0
	;; [unrolled: 1-line block ×3, first 2 shown]
	s_lshl_b64 s[0:1], s[8:9], 3
	s_lshl_b64 s[8:9], s[16:17], 3
	;; [unrolled: 1-line block ×3, first 2 shown]
	s_lshl_b32 s24, ttmp9, 6
	s_and_b32 s33, ttmp7, 0xffff
	s_ashr_i32 s25, s24, 31
	v_mad_co_u64_u32 v[6:7], null, s11, v14, v[1:2]
	v_mad_co_u64_u32 v[7:8], null, s27, v9, v[3:4]
	v_or_b32_e32 v8, 1, v10
	s_add_nc_u64 s[0:1], s[6:7], s[0:1]
	s_add_nc_u64 s[8:9], s[14:15], s[8:9]
	;; [unrolled: 1-line block ×3, first 2 shown]
	s_delay_alu instid0(VALU_DEP_3) | instskip(SKIP_1) | instid1(VALU_DEP_4)
	v_mov_b32_e32 v1, v6
	v_mad_co_u64_u32 v[12:13], null, s18, v8, 0
	v_mov_b32_e32 v3, v7
	v_mad_co_u64_u32 v[10:11], null, s18, v14, 0
	v_mad_co_u64_u32 v[5:6], null, s27, v15, v[5:6]
	s_lshl_b32 s14, s33, 6
	v_mov_b32_e32 v7, v13
	s_lshl_b64 s[16:17], s[24:25], 3
	s_mov_b32 s15, s3
	v_mov_b32_e32 v6, v11
	s_add_nc_u64 s[0:1], s[0:1], s[16:17]
	s_mul_u64 s[16:17], s[10:11], s[14:15]
	v_lshlrev_b64_e32 v[0:1], 3, v[0:1]
	s_lshl_b64 s[16:17], s[16:17], 3
	v_mad_co_u64_u32 v[13:14], null, s19, v14, v[6:7]
	v_mad_co_u64_u32 v[6:7], null, s19, v8, v[7:8]
	s_add_nc_u64 s[0:1], s[0:1], s[16:17]
	v_lshlrev_b32_e32 v9, 3, v9
	v_add_co_u32 v0, vcc_lo, s0, v0
	s_xor_b32 s0, s31, -1
	v_add_co_ci_u32_e64 v1, null, s1, v1, vcc_lo
	v_mov_b32_e32 v11, v13
	v_mov_b32_e32 v13, v6
	s_wait_alu 0xfffe
	v_cndmask_b32_e64 v14, 0, 1, s0
	v_add_co_u32 v8, vcc_lo, v0, v9
	s_mul_u64 s[24:25], s[26:27], s[24:25]
	s_mul_u64 s[14:15], s[18:19], s[14:15]
	s_wait_alu 0xfffd
	v_add_co_ci_u32_e64 v9, null, 0, v1, vcc_lo
	v_lshlrev_b64_e32 v[0:1], 3, v[2:3]
	v_lshlrev_b64_e32 v[2:3], 3, v[4:5]
	;; [unrolled: 1-line block ×4, first 2 shown]
	v_cmp_ne_u32_e64 s0, 1, v14
	s_lshl_b64 s[16:17], s[24:25], 3
	s_lshl_b64 s[14:15], s[14:15], 3
	s_add_nc_u64 s[6:7], s[6:7], s[16:17]
	s_add_nc_u64 s[8:9], s[8:9], s[14:15]
	s_lshl_b64 s[10:11], s[10:11], 3
	s_branch .LBB28_3
.LBB28_2:                               ;   in Loop: Header=BB28_3 Depth=1
	s_add_co_i32 s2, s2, 0x10000
	s_delay_alu instid0(SALU_CYCLE_1)
	s_cmp_lt_u32 s2, s30
	s_cbranch_scc0 .LBB28_7
.LBB28_3:                               ; =>This Inner Loop Header: Depth=1
	s_and_b32 vcc_lo, exec_lo, s0
	s_mov_b32 s15, s21
	s_mov_b32 s14, s20
	s_wait_alu 0xfffe
	s_cbranch_vccnz .LBB28_5
; %bb.4:                                ;   in Loop: Header=BB28_3 Depth=1
	s_mul_u64 s[14:15], s[22:23], s[2:3]
	s_wait_alu 0xfffe
	s_lshl_b64 s[14:15], s[14:15], 3
	s_wait_alu 0xfffe
	s_add_nc_u64 s[14:15], s[20:21], s[14:15]
	s_load_b64 s[14:15], s[14:15], 0x0
.LBB28_5:                               ;   in Loop: Header=BB28_3 Depth=1
	s_wait_kmcnt 0x0
	s_cmp_neq_f32 s14, 0
	s_cselect_b32 s1, -1, 0
	s_cmp_neq_f32 s15, 0
	s_cselect_b32 s16, -1, 0
	s_wait_alu 0xfffe
	s_or_b32 s1, s1, s16
	s_wait_alu 0xfffe
	s_and_not1_b32 vcc_lo, exec_lo, s1
	s_wait_alu 0xfffe
	s_cbranch_vccnz .LBB28_2
; %bb.6:                                ;   in Loop: Header=BB28_3 Depth=1
	s_mul_u64 s[16:17], s[12:13], s[2:3]
	s_wait_alu 0xfffe
	s_lshl_b64 s[16:17], s[16:17], 3
	s_wait_alu 0xfffe
	s_add_nc_u64 s[16:17], s[6:7], s[16:17]
	s_wait_alu 0xfffe
	v_add_co_u32 v10, vcc_lo, s16, v0
	s_wait_alu 0xfffd
	v_add_co_ci_u32_e64 v11, null, s17, v1, vcc_lo
	v_add_co_u32 v12, vcc_lo, s16, v2
	s_wait_alu 0xfffd
	v_add_co_ci_u32_e64 v13, null, s17, v3, vcc_lo
	s_mul_u64 s[16:17], s[4:5], s[2:3]
	s_clause 0x1
	global_load_b64 v[10:11], v[10:11], off
	global_load_b64 v[12:13], v[12:13], off
	s_wait_alu 0xfffe
	s_lshl_b64 s[16:17], s[16:17], 3
	s_wait_alu 0xfffe
	s_add_nc_u64 s[16:17], s[8:9], s[16:17]
	s_wait_alu 0xfffe
	v_add_co_u32 v14, vcc_lo, s16, v4
	s_wait_alu 0xfffd
	v_add_co_ci_u32_e64 v15, null, s17, v5, vcc_lo
	v_add_co_u32 v16, vcc_lo, s16, v6
	s_wait_alu 0xfffd
	v_add_co_ci_u32_e64 v17, null, s17, v7, vcc_lo
	s_mul_u64 s[16:17], s[28:29], s[2:3]
	global_load_b64 v[14:15], v[14:15], off
	s_wait_alu 0xfffe
	s_lshl_b64 s[16:17], s[16:17], 3
	global_load_b64 v[16:17], v[16:17], off
	s_wait_alu 0xfffe
	v_add_co_u32 v18, vcc_lo, v8, s16
	s_wait_alu 0xfffd
	v_add_co_ci_u32_e64 v19, null, s17, v9, vcc_lo
	s_delay_alu instid0(VALU_DEP_2) | instskip(SKIP_1) | instid1(VALU_DEP_2)
	v_add_co_u32 v20, vcc_lo, v18, s10
	s_wait_alu 0xfffd
	v_add_co_ci_u32_e64 v21, null, s11, v19, vcc_lo
	s_clause 0x3
	global_load_b64 v[22:23], v[18:19], off
	global_load_b64 v[24:25], v[20:21], off
	global_load_b64 v[26:27], v[20:21], off offset:256
	global_load_b64 v[28:29], v[18:19], off offset:256
	s_wait_loadcnt 0x6
	v_dual_mul_f32 v30, s14, v11 :: v_dual_mul_f32 v31, s15, v13
	s_delay_alu instid0(VALU_DEP_1) | instskip(SKIP_1) | instid1(VALU_DEP_2)
	v_dual_mul_f32 v11, s15, v11 :: v_dual_fmac_f32 v30, s15, v10
	v_mul_f32_e32 v13, s14, v13
	v_fma_f32 v10, s14, v10, -v11
	s_delay_alu instid0(VALU_DEP_4) | instskip(SKIP_1) | instid1(VALU_DEP_3)
	v_fma_f32 v11, s14, v12, -v31
	s_wait_loadcnt 0x5
	v_dual_fmac_f32 v13, s15, v12 :: v_dual_mul_f32 v12, v30, v15
	s_wait_loadcnt 0x4
	v_mul_f32_e32 v32, v30, v17
	s_delay_alu instid0(VALU_DEP_2) | instskip(SKIP_2) | instid1(VALU_DEP_4)
	v_dual_mul_f32 v33, v10, v17 :: v_dual_mul_f32 v34, v13, v15
	v_mul_f32_e32 v31, v10, v15
	v_dual_mul_f32 v15, v11, v15 :: v_dual_fmac_f32 v12, v10, v14
	v_dual_mul_f32 v35, v13, v17 :: v_dual_fmac_f32 v32, v10, v16
	v_mul_f32_e32 v17, v11, v17
	v_fmac_f32_e32 v34, v11, v14
	v_fma_f32 v31, v30, v14, -v31
	v_fma_f32 v30, v30, v16, -v33
	;; [unrolled: 1-line block ×3, first 2 shown]
	s_wait_loadcnt 0x0
	v_dual_fmac_f32 v35, v11, v16 :: v_dual_add_f32 v14, v28, v34
	v_add_f32_e32 v10, v22, v12
	v_fma_f32 v17, v13, v16, -v17
	v_dual_add_f32 v11, v31, v23 :: v_dual_add_f32 v12, v24, v32
	v_add_f32_e32 v13, v30, v25
	v_dual_add_f32 v15, v15, v29 :: v_dual_add_f32 v16, v26, v35
	s_delay_alu instid0(VALU_DEP_4)
	v_add_f32_e32 v17, v17, v27
	s_clause 0x3
	global_store_b64 v[18:19], v[10:11], off
	global_store_b64 v[20:21], v[12:13], off
	global_store_b64 v[18:19], v[14:15], off offset:256
	global_store_b64 v[20:21], v[16:17], off offset:256
	s_branch .LBB28_2
.LBB28_7:
	s_endpgm
	.section	.rodata,"a",@progbits
	.p2align	6, 0x0
	.amdhsa_kernel _ZL34rocblas_ger_double_buffered_kernelILb1ELi64ELi16ELi2E19rocblas_complex_numIfE24rocblas_internal_val_ptrIS1_EPKS1_PS1_EvbiiT4_lT5_lllS8_lllT6_lmli
		.amdhsa_group_segment_fixed_size 0
		.amdhsa_private_segment_fixed_size 0
		.amdhsa_kernarg_size 132
		.amdhsa_user_sgpr_count 2
		.amdhsa_user_sgpr_dispatch_ptr 0
		.amdhsa_user_sgpr_queue_ptr 0
		.amdhsa_user_sgpr_kernarg_segment_ptr 1
		.amdhsa_user_sgpr_dispatch_id 0
		.amdhsa_user_sgpr_private_segment_size 0
		.amdhsa_wavefront_size32 1
		.amdhsa_uses_dynamic_stack 0
		.amdhsa_enable_private_segment 0
		.amdhsa_system_sgpr_workgroup_id_x 1
		.amdhsa_system_sgpr_workgroup_id_y 1
		.amdhsa_system_sgpr_workgroup_id_z 1
		.amdhsa_system_sgpr_workgroup_info 0
		.amdhsa_system_vgpr_workitem_id 1
		.amdhsa_next_free_vgpr 36
		.amdhsa_next_free_sgpr 36
		.amdhsa_reserve_vcc 1
		.amdhsa_float_round_mode_32 0
		.amdhsa_float_round_mode_16_64 0
		.amdhsa_float_denorm_mode_32 3
		.amdhsa_float_denorm_mode_16_64 3
		.amdhsa_fp16_overflow 0
		.amdhsa_workgroup_processor_mode 1
		.amdhsa_memory_ordered 1
		.amdhsa_forward_progress 1
		.amdhsa_inst_pref_size 9
		.amdhsa_round_robin_scheduling 0
		.amdhsa_exception_fp_ieee_invalid_op 0
		.amdhsa_exception_fp_denorm_src 0
		.amdhsa_exception_fp_ieee_div_zero 0
		.amdhsa_exception_fp_ieee_overflow 0
		.amdhsa_exception_fp_ieee_underflow 0
		.amdhsa_exception_fp_ieee_inexact 0
		.amdhsa_exception_int_div_zero 0
	.end_amdhsa_kernel
	.section	.text._ZL34rocblas_ger_double_buffered_kernelILb1ELi64ELi16ELi2E19rocblas_complex_numIfE24rocblas_internal_val_ptrIS1_EPKS1_PS1_EvbiiT4_lT5_lllS8_lllT6_lmli,"axG",@progbits,_ZL34rocblas_ger_double_buffered_kernelILb1ELi64ELi16ELi2E19rocblas_complex_numIfE24rocblas_internal_val_ptrIS1_EPKS1_PS1_EvbiiT4_lT5_lllS8_lllT6_lmli,comdat
.Lfunc_end28:
	.size	_ZL34rocblas_ger_double_buffered_kernelILb1ELi64ELi16ELi2E19rocblas_complex_numIfE24rocblas_internal_val_ptrIS1_EPKS1_PS1_EvbiiT4_lT5_lllS8_lllT6_lmli, .Lfunc_end28-_ZL34rocblas_ger_double_buffered_kernelILb1ELi64ELi16ELi2E19rocblas_complex_numIfE24rocblas_internal_val_ptrIS1_EPKS1_PS1_EvbiiT4_lT5_lllS8_lllT6_lmli
                                        ; -- End function
	.set _ZL34rocblas_ger_double_buffered_kernelILb1ELi64ELi16ELi2E19rocblas_complex_numIfE24rocblas_internal_val_ptrIS1_EPKS1_PS1_EvbiiT4_lT5_lllS8_lllT6_lmli.num_vgpr, 36
	.set _ZL34rocblas_ger_double_buffered_kernelILb1ELi64ELi16ELi2E19rocblas_complex_numIfE24rocblas_internal_val_ptrIS1_EPKS1_PS1_EvbiiT4_lT5_lllS8_lllT6_lmli.num_agpr, 0
	.set _ZL34rocblas_ger_double_buffered_kernelILb1ELi64ELi16ELi2E19rocblas_complex_numIfE24rocblas_internal_val_ptrIS1_EPKS1_PS1_EvbiiT4_lT5_lllS8_lllT6_lmli.numbered_sgpr, 36
	.set _ZL34rocblas_ger_double_buffered_kernelILb1ELi64ELi16ELi2E19rocblas_complex_numIfE24rocblas_internal_val_ptrIS1_EPKS1_PS1_EvbiiT4_lT5_lllS8_lllT6_lmli.num_named_barrier, 0
	.set _ZL34rocblas_ger_double_buffered_kernelILb1ELi64ELi16ELi2E19rocblas_complex_numIfE24rocblas_internal_val_ptrIS1_EPKS1_PS1_EvbiiT4_lT5_lllS8_lllT6_lmli.private_seg_size, 0
	.set _ZL34rocblas_ger_double_buffered_kernelILb1ELi64ELi16ELi2E19rocblas_complex_numIfE24rocblas_internal_val_ptrIS1_EPKS1_PS1_EvbiiT4_lT5_lllS8_lllT6_lmli.uses_vcc, 1
	.set _ZL34rocblas_ger_double_buffered_kernelILb1ELi64ELi16ELi2E19rocblas_complex_numIfE24rocblas_internal_val_ptrIS1_EPKS1_PS1_EvbiiT4_lT5_lllS8_lllT6_lmli.uses_flat_scratch, 0
	.set _ZL34rocblas_ger_double_buffered_kernelILb1ELi64ELi16ELi2E19rocblas_complex_numIfE24rocblas_internal_val_ptrIS1_EPKS1_PS1_EvbiiT4_lT5_lllS8_lllT6_lmli.has_dyn_sized_stack, 0
	.set _ZL34rocblas_ger_double_buffered_kernelILb1ELi64ELi16ELi2E19rocblas_complex_numIfE24rocblas_internal_val_ptrIS1_EPKS1_PS1_EvbiiT4_lT5_lllS8_lllT6_lmli.has_recursion, 0
	.set _ZL34rocblas_ger_double_buffered_kernelILb1ELi64ELi16ELi2E19rocblas_complex_numIfE24rocblas_internal_val_ptrIS1_EPKS1_PS1_EvbiiT4_lT5_lllS8_lllT6_lmli.has_indirect_call, 0
	.section	.AMDGPU.csdata,"",@progbits
; Kernel info:
; codeLenInByte = 1100
; TotalNumSgprs: 38
; NumVgprs: 36
; ScratchSize: 0
; MemoryBound: 0
; FloatMode: 240
; IeeeMode: 1
; LDSByteSize: 0 bytes/workgroup (compile time only)
; SGPRBlocks: 0
; VGPRBlocks: 4
; NumSGPRsForWavesPerEU: 38
; NumVGPRsForWavesPerEU: 36
; Occupancy: 16
; WaveLimiterHint : 0
; COMPUTE_PGM_RSRC2:SCRATCH_EN: 0
; COMPUTE_PGM_RSRC2:USER_SGPR: 2
; COMPUTE_PGM_RSRC2:TRAP_HANDLER: 0
; COMPUTE_PGM_RSRC2:TGID_X_EN: 1
; COMPUTE_PGM_RSRC2:TGID_Y_EN: 1
; COMPUTE_PGM_RSRC2:TGID_Z_EN: 1
; COMPUTE_PGM_RSRC2:TIDIG_COMP_CNT: 1
	.section	.text._ZL18rocblas_ger_kernelILi32ELi32ELi2ELb1E19rocblas_complex_numIfEPKS1_S3_PS1_EviiT4_lT5_lllS6_lllT6_lmli,"axG",@progbits,_ZL18rocblas_ger_kernelILi32ELi32ELi2ELb1E19rocblas_complex_numIfEPKS1_S3_PS1_EviiT4_lT5_lllS6_lllT6_lmli,comdat
	.globl	_ZL18rocblas_ger_kernelILi32ELi32ELi2ELb1E19rocblas_complex_numIfEPKS1_S3_PS1_EviiT4_lT5_lllS6_lllT6_lmli ; -- Begin function _ZL18rocblas_ger_kernelILi32ELi32ELi2ELb1E19rocblas_complex_numIfEPKS1_S3_PS1_EviiT4_lT5_lllS6_lllT6_lmli
	.p2align	8
	.type	_ZL18rocblas_ger_kernelILi32ELi32ELi2ELb1E19rocblas_complex_numIfEPKS1_S3_PS1_EviiT4_lT5_lllS6_lllT6_lmli,@function
_ZL18rocblas_ger_kernelILi32ELi32ELi2ELb1E19rocblas_complex_numIfEPKS1_S3_PS1_EviiT4_lT5_lllS6_lllT6_lmli: ; @_ZL18rocblas_ger_kernelILi32ELi32ELi2ELb1E19rocblas_complex_numIfEPKS1_S3_PS1_EviiT4_lT5_lllS6_lllT6_lmli
; %bb.0:
	s_load_b32 s33, s[0:1], 0x78
	s_lshr_b32 s28, ttmp7, 16
	s_wait_kmcnt 0x0
	s_cmp_ge_u32 s28, s33
	s_cbranch_scc1 .LBB29_18
; %bb.1:
	s_clause 0x3
	s_load_b64 s[34:35], s[0:1], 0x0
	s_load_b128 s[24:27], s[0:1], 0x8
	s_load_b256 s[8:15], s[0:1], 0x50
	s_load_b256 s[16:23], s[0:1], 0x30
	v_and_b32_e32 v2, 0x3ff, v0
	s_wait_kmcnt 0x0
	s_add_co_i32 s2, s34, -1
	s_delay_alu instid0(SALU_CYCLE_1) | instskip(NEXT) | instid1(SALU_CYCLE_1)
	s_ashr_i32 s3, s2, 31
	s_lshr_b32 s3, s3, 27
	s_delay_alu instid0(SALU_CYCLE_1) | instskip(NEXT) | instid1(SALU_CYCLE_1)
	s_add_co_i32 s2, s2, s3
	s_ashr_i32 s29, s2, 5
	s_delay_alu instid0(SALU_CYCLE_1) | instskip(NEXT) | instid1(SALU_CYCLE_1)
	s_add_co_i32 s36, s29, 1
	s_cvt_f32_u32 s2, s36
	s_delay_alu instid0(SALU_CYCLE_3) | instskip(NEXT) | instid1(TRANS32_DEP_1)
	v_rcp_iflag_f32_e32 v1, s2
	v_readfirstlane_b32 s2, v1
	v_bfe_u32 v1, v0, 10, 10
	s_mul_f32 s30, s2, 0x4f7ffffe
	s_clause 0x1
	s_load_b64 s[2:3], s[0:1], 0x18
	s_load_b128 s[4:7], s[0:1], 0x20
	v_lshlrev_b32_e32 v0, 1, v1
	v_lshlrev_b32_e32 v8, 4, v1
	s_cvt_u32_f32 s37, s30
	s_load_b64 s[30:31], s[0:1], 0x70
	s_not_b32 s0, s29
	s_delay_alu instid0(SALU_CYCLE_1) | instskip(NEXT) | instid1(SALU_CYCLE_1)
	s_mul_i32 s0, s0, s37
	s_mul_hi_u32 s1, s37, s0
	v_cmp_eq_u32_e64 s0, 0, v1
	s_add_co_i32 s37, s37, s1
	s_delay_alu instid0(SALU_CYCLE_1) | instskip(NEXT) | instid1(SALU_CYCLE_1)
	s_mul_hi_u32 s29, ttmp9, s37
	s_mul_i32 s37, s29, s36
	s_add_co_i32 s38, s29, 1
	s_sub_co_i32 s37, ttmp9, s37
	s_delay_alu instid0(SALU_CYCLE_1)
	s_sub_co_i32 s39, s37, s36
	s_cmp_ge_u32 s37, s36
	s_cselect_b32 s29, s38, s29
	s_cselect_b32 s37, s39, s37
	s_add_co_i32 s38, s29, 1
	s_cmp_ge_u32 s37, s36
	s_cselect_b32 s29, s38, s29
	s_lshl_b64 s[12:13], s[12:13], 3
	v_lshl_add_u32 v1, s29, 6, v0
	s_lshl_b64 s[20:21], s[20:21], 3
	s_mul_i32 s29, s29, s36
	s_add_nc_u64 s[10:11], s[10:11], s[12:13]
	s_add_nc_u64 s[12:13], s[18:19], s[20:21]
	s_wait_alu 0xfffe
	s_sub_co_i32 s20, ttmp9, s29
	v_or_b32_e32 v15, v1, v2
	v_lshl_add_u32 v0, s20, 5, v2
	v_ashrrev_i32_e32 v11, 31, v1
	s_wait_kmcnt 0x0
	s_lshl_b64 s[4:5], s[4:5], 3
	v_mul_lo_u32 v16, s15, v1
	v_mad_co_u64_u32 v[4:5], null, s22, v15, 0
	v_mad_co_u64_u32 v[6:7], null, s6, v0, 0
	v_mul_lo_u32 v19, s14, v11
	s_add_nc_u64 s[18:19], s[2:3], s[4:5]
	v_cmp_gt_i32_e64 s2, s35, v1
	v_or_b32_e32 v17, 1, v1
	v_mul_lo_u32 v18, s7, v0
	v_cmp_gt_i32_e64 s3, s34, v0
	v_mad_co_u64_u32 v[11:12], null, s23, v15, v[5:6]
	s_delay_alu instid0(VALU_DEP_4)
	v_mul_lo_u32 v21, s15, v17
	v_mad_co_u64_u32 v[13:14], null, s14, v17, 0
	v_cmp_gt_u32_e64 s4, s35, v15
	v_cmp_gt_i32_e64 s5, s35, v17
	v_mov_b32_e32 v17, 0
	v_mov_b32_e32 v5, v11
	v_lshlrev_b32_e32 v3, 3, v2
	v_cmp_gt_u32_e64 s1, 2, v2
	v_add3_u32 v14, v14, v19, v21
	s_mov_b32 s29, 0
	v_lshlrev_b64_e32 v[4:5], 3, v[4:5]
	v_add_nc_u32_e32 v9, 0x200, v3
	v_add_nc_u32_e32 v10, v8, v3
	v_mad_co_u64_u32 v[2:3], null, s14, v1, 0
	v_ashrrev_i32_e32 v1, 31, v0
	s_delay_alu instid0(VALU_DEP_1) | instskip(SKIP_1) | instid1(VALU_DEP_4)
	v_mul_lo_u32 v20, s6, v1
	v_lshlrev_b64_e32 v[0:1], 3, v[0:1]
	v_add3_u32 v3, v3, v19, v16
	s_delay_alu instid0(VALU_DEP_2) | instskip(NEXT) | instid1(VALU_DEP_4)
	v_add_co_u32 v11, vcc_lo, s10, v0
	v_add3_u32 v7, v7, v20, v18
	s_delay_alu instid0(VALU_DEP_4) | instskip(NEXT) | instid1(VALU_DEP_4)
	v_add_co_ci_u32_e64 v12, null, s11, v1, vcc_lo
	v_lshlrev_b64_e32 v[0:1], 3, v[2:3]
	v_lshlrev_b64_e32 v[2:3], 3, v[13:14]
	s_delay_alu instid0(VALU_DEP_4) | instskip(NEXT) | instid1(VALU_DEP_1)
	v_lshlrev_b64_e32 v[6:7], 3, v[6:7]
	v_add_co_u32 v13, vcc_lo, s18, v6
	s_wait_alu 0xfffd
	s_delay_alu instid0(VALU_DEP_2)
	v_add_co_ci_u32_e64 v14, null, s19, v7, vcc_lo
	v_add_co_u32 v15, vcc_lo, s12, v4
	s_wait_alu 0xfffd
	v_add_co_ci_u32_e64 v16, null, s13, v5, vcc_lo
	s_branch .LBB29_4
.LBB29_2:                               ;   in Loop: Header=BB29_4 Depth=1
	s_wait_alu 0xfffe
	s_or_b32 exec_lo, exec_lo, s6
.LBB29_3:                               ;   in Loop: Header=BB29_4 Depth=1
	s_add_co_i32 s28, s28, 0x10000
	s_wait_alu 0xfffe
	s_cmp_lt_u32 s28, s33
	s_cbranch_scc0 .LBB29_18
.LBB29_4:                               ; =>This Inner Loop Header: Depth=1
	s_wait_alu 0xfffe
	s_mul_u64 s[6:7], s[26:27], s[28:29]
	s_wait_alu 0xfffe
	s_lshl_b64 s[6:7], s[6:7], 3
	s_wait_alu 0xfffe
	s_add_nc_u64 s[6:7], s[24:25], s[6:7]
	global_load_b64 v[4:5], v17, s[6:7]
	s_wait_loadcnt 0x0
	v_or_b32_e32 v6, v4, v5
	s_delay_alu instid0(VALU_DEP_1) | instskip(NEXT) | instid1(VALU_DEP_1)
	v_and_b32_e32 v6, 0x7fffffff, v6
	v_cmp_eq_u32_e32 vcc_lo, 0, v6
	s_cbranch_vccnz .LBB29_3
; %bb.5:                                ;   in Loop: Header=BB29_4 Depth=1
	s_and_saveexec_b32 s6, s0
	s_cbranch_execz .LBB29_9
; %bb.6:                                ;   in Loop: Header=BB29_4 Depth=1
	v_dual_mov_b32 v6, 0 :: v_dual_mov_b32 v7, 0
	s_and_saveexec_b32 s7, s3
	s_cbranch_execz .LBB29_8
; %bb.7:                                ;   in Loop: Header=BB29_4 Depth=1
	s_mul_u64 s[10:11], s[16:17], s[28:29]
	s_wait_alu 0xfffe
	s_lshl_b64 s[10:11], s[10:11], 3
	s_wait_alu 0xfffe
	v_add_co_u32 v6, vcc_lo, v13, s10
	s_wait_alu 0xfffd
	v_add_co_ci_u32_e64 v7, null, s11, v14, vcc_lo
	global_load_b64 v[6:7], v[6:7], off
.LBB29_8:                               ;   in Loop: Header=BB29_4 Depth=1
	s_wait_alu 0xfffe
	s_or_b32 exec_lo, exec_lo, s7
	s_wait_loadcnt 0x0
	ds_store_b64 v9, v[6:7]
.LBB29_9:                               ;   in Loop: Header=BB29_4 Depth=1
	s_wait_alu 0xfffe
	s_or_b32 exec_lo, exec_lo, s6
	s_and_saveexec_b32 s6, s1
	s_cbranch_execz .LBB29_13
; %bb.10:                               ;   in Loop: Header=BB29_4 Depth=1
	v_dual_mov_b32 v6, 0 :: v_dual_mov_b32 v7, 0
	s_and_saveexec_b32 s7, s4
	s_cbranch_execz .LBB29_12
; %bb.11:                               ;   in Loop: Header=BB29_4 Depth=1
	s_mul_u64 s[10:11], s[8:9], s[28:29]
	s_wait_alu 0xfffe
	s_lshl_b64 s[10:11], s[10:11], 3
	s_wait_alu 0xfffe
	v_add_co_u32 v6, vcc_lo, v15, s10
	s_wait_alu 0xfffd
	v_add_co_ci_u32_e64 v7, null, s11, v16, vcc_lo
	global_load_b64 v[6:7], v[6:7], off
.LBB29_12:                              ;   in Loop: Header=BB29_4 Depth=1
	s_wait_alu 0xfffe
	s_or_b32 exec_lo, exec_lo, s7
	s_wait_loadcnt 0x0
	ds_store_b64 v10, v[6:7]
.LBB29_13:                              ;   in Loop: Header=BB29_4 Depth=1
	s_wait_alu 0xfffe
	s_or_b32 exec_lo, exec_lo, s6
	s_wait_dscnt 0x0
	s_barrier_signal -1
	s_barrier_wait -1
	global_inv scope:SCOPE_SE
	s_and_saveexec_b32 s6, s3
	s_cbranch_execz .LBB29_2
; %bb.14:                               ;   in Loop: Header=BB29_4 Depth=1
	ds_load_b64 v[18:19], v9
	s_mul_u64 s[10:11], s[30:31], s[28:29]
	s_wait_alu 0xfffe
	s_lshl_b64 s[10:11], s[10:11], 3
	s_wait_dscnt 0x0
	v_mul_f32_e32 v6, v19, v4
	v_mul_f32_e32 v7, v19, v5
	s_delay_alu instid0(VALU_DEP_2) | instskip(SKIP_2) | instid1(VALU_DEP_3)
	v_fmac_f32_e32 v6, v18, v5
	s_wait_alu 0xfffe
	v_add_co_u32 v5, vcc_lo, v11, s10
	v_fma_f32 v4, v18, v4, -v7
	s_wait_alu 0xfffd
	v_add_co_ci_u32_e64 v7, null, s11, v12, vcc_lo
	s_and_saveexec_b32 s7, s2
	s_cbranch_execz .LBB29_16
; %bb.15:                               ;   in Loop: Header=BB29_4 Depth=1
	v_add_co_u32 v18, vcc_lo, v5, v0
	s_wait_alu 0xfffd
	v_add_co_ci_u32_e64 v19, null, v7, v1, vcc_lo
	ds_load_b64 v[22:23], v8
	global_load_b64 v[20:21], v[18:19], off
	s_wait_dscnt 0x0
	v_mul_f32_e32 v24, v6, v23
	v_mul_f32_e32 v23, v4, v23
	s_delay_alu instid0(VALU_DEP_2) | instskip(NEXT) | instid1(VALU_DEP_2)
	v_fmac_f32_e32 v24, v4, v22
	v_fma_f32 v22, v6, v22, -v23
	s_wait_loadcnt 0x0
	s_delay_alu instid0(VALU_DEP_1)
	v_dual_add_f32 v21, v22, v21 :: v_dual_add_f32 v20, v20, v24
	global_store_b64 v[18:19], v[20:21], off
.LBB29_16:                              ;   in Loop: Header=BB29_4 Depth=1
	s_wait_alu 0xfffe
	s_or_b32 exec_lo, exec_lo, s7
	s_delay_alu instid0(SALU_CYCLE_1)
	s_and_b32 exec_lo, exec_lo, s5
	s_cbranch_execz .LBB29_2
; %bb.17:                               ;   in Loop: Header=BB29_4 Depth=1
	v_add_co_u32 v18, vcc_lo, v5, v2
	s_wait_alu 0xfffd
	v_add_co_ci_u32_e64 v19, null, v7, v3, vcc_lo
	ds_load_b64 v[22:23], v8 offset:8
	global_load_b64 v[20:21], v[18:19], off
	s_wait_dscnt 0x0
	v_mul_f32_e32 v5, v6, v23
	v_mul_f32_e32 v7, v4, v23
	s_delay_alu instid0(VALU_DEP_2) | instskip(NEXT) | instid1(VALU_DEP_2)
	v_fmac_f32_e32 v5, v4, v22
	v_fma_f32 v6, v6, v22, -v7
	s_wait_loadcnt 0x0
	s_delay_alu instid0(VALU_DEP_2) | instskip(NEXT) | instid1(VALU_DEP_2)
	v_add_f32_e32 v4, v20, v5
	v_add_f32_e32 v5, v6, v21
	global_store_b64 v[18:19], v[4:5], off
	s_branch .LBB29_2
.LBB29_18:
	s_endpgm
	.section	.rodata,"a",@progbits
	.p2align	6, 0x0
	.amdhsa_kernel _ZL18rocblas_ger_kernelILi32ELi32ELi2ELb1E19rocblas_complex_numIfEPKS1_S3_PS1_EviiT4_lT5_lllS6_lllT6_lmli
		.amdhsa_group_segment_fixed_size 768
		.amdhsa_private_segment_fixed_size 0
		.amdhsa_kernarg_size 124
		.amdhsa_user_sgpr_count 2
		.amdhsa_user_sgpr_dispatch_ptr 0
		.amdhsa_user_sgpr_queue_ptr 0
		.amdhsa_user_sgpr_kernarg_segment_ptr 1
		.amdhsa_user_sgpr_dispatch_id 0
		.amdhsa_user_sgpr_private_segment_size 0
		.amdhsa_wavefront_size32 1
		.amdhsa_uses_dynamic_stack 0
		.amdhsa_enable_private_segment 0
		.amdhsa_system_sgpr_workgroup_id_x 1
		.amdhsa_system_sgpr_workgroup_id_y 0
		.amdhsa_system_sgpr_workgroup_id_z 1
		.amdhsa_system_sgpr_workgroup_info 0
		.amdhsa_system_vgpr_workitem_id 1
		.amdhsa_next_free_vgpr 25
		.amdhsa_next_free_sgpr 40
		.amdhsa_reserve_vcc 1
		.amdhsa_float_round_mode_32 0
		.amdhsa_float_round_mode_16_64 0
		.amdhsa_float_denorm_mode_32 3
		.amdhsa_float_denorm_mode_16_64 3
		.amdhsa_fp16_overflow 0
		.amdhsa_workgroup_processor_mode 1
		.amdhsa_memory_ordered 1
		.amdhsa_forward_progress 1
		.amdhsa_inst_pref_size 10
		.amdhsa_round_robin_scheduling 0
		.amdhsa_exception_fp_ieee_invalid_op 0
		.amdhsa_exception_fp_denorm_src 0
		.amdhsa_exception_fp_ieee_div_zero 0
		.amdhsa_exception_fp_ieee_overflow 0
		.amdhsa_exception_fp_ieee_underflow 0
		.amdhsa_exception_fp_ieee_inexact 0
		.amdhsa_exception_int_div_zero 0
	.end_amdhsa_kernel
	.section	.text._ZL18rocblas_ger_kernelILi32ELi32ELi2ELb1E19rocblas_complex_numIfEPKS1_S3_PS1_EviiT4_lT5_lllS6_lllT6_lmli,"axG",@progbits,_ZL18rocblas_ger_kernelILi32ELi32ELi2ELb1E19rocblas_complex_numIfEPKS1_S3_PS1_EviiT4_lT5_lllS6_lllT6_lmli,comdat
.Lfunc_end29:
	.size	_ZL18rocblas_ger_kernelILi32ELi32ELi2ELb1E19rocblas_complex_numIfEPKS1_S3_PS1_EviiT4_lT5_lllS6_lllT6_lmli, .Lfunc_end29-_ZL18rocblas_ger_kernelILi32ELi32ELi2ELb1E19rocblas_complex_numIfEPKS1_S3_PS1_EviiT4_lT5_lllS6_lllT6_lmli
                                        ; -- End function
	.set _ZL18rocblas_ger_kernelILi32ELi32ELi2ELb1E19rocblas_complex_numIfEPKS1_S3_PS1_EviiT4_lT5_lllS6_lllT6_lmli.num_vgpr, 25
	.set _ZL18rocblas_ger_kernelILi32ELi32ELi2ELb1E19rocblas_complex_numIfEPKS1_S3_PS1_EviiT4_lT5_lllS6_lllT6_lmli.num_agpr, 0
	.set _ZL18rocblas_ger_kernelILi32ELi32ELi2ELb1E19rocblas_complex_numIfEPKS1_S3_PS1_EviiT4_lT5_lllS6_lllT6_lmli.numbered_sgpr, 40
	.set _ZL18rocblas_ger_kernelILi32ELi32ELi2ELb1E19rocblas_complex_numIfEPKS1_S3_PS1_EviiT4_lT5_lllS6_lllT6_lmli.num_named_barrier, 0
	.set _ZL18rocblas_ger_kernelILi32ELi32ELi2ELb1E19rocblas_complex_numIfEPKS1_S3_PS1_EviiT4_lT5_lllS6_lllT6_lmli.private_seg_size, 0
	.set _ZL18rocblas_ger_kernelILi32ELi32ELi2ELb1E19rocblas_complex_numIfEPKS1_S3_PS1_EviiT4_lT5_lllS6_lllT6_lmli.uses_vcc, 1
	.set _ZL18rocblas_ger_kernelILi32ELi32ELi2ELb1E19rocblas_complex_numIfEPKS1_S3_PS1_EviiT4_lT5_lllS6_lllT6_lmli.uses_flat_scratch, 0
	.set _ZL18rocblas_ger_kernelILi32ELi32ELi2ELb1E19rocblas_complex_numIfEPKS1_S3_PS1_EviiT4_lT5_lllS6_lllT6_lmli.has_dyn_sized_stack, 0
	.set _ZL18rocblas_ger_kernelILi32ELi32ELi2ELb1E19rocblas_complex_numIfEPKS1_S3_PS1_EviiT4_lT5_lllS6_lllT6_lmli.has_recursion, 0
	.set _ZL18rocblas_ger_kernelILi32ELi32ELi2ELb1E19rocblas_complex_numIfEPKS1_S3_PS1_EviiT4_lT5_lllS6_lllT6_lmli.has_indirect_call, 0
	.section	.AMDGPU.csdata,"",@progbits
; Kernel info:
; codeLenInByte = 1232
; TotalNumSgprs: 42
; NumVgprs: 25
; ScratchSize: 0
; MemoryBound: 0
; FloatMode: 240
; IeeeMode: 1
; LDSByteSize: 768 bytes/workgroup (compile time only)
; SGPRBlocks: 0
; VGPRBlocks: 3
; NumSGPRsForWavesPerEU: 42
; NumVGPRsForWavesPerEU: 25
; Occupancy: 16
; WaveLimiterHint : 0
; COMPUTE_PGM_RSRC2:SCRATCH_EN: 0
; COMPUTE_PGM_RSRC2:USER_SGPR: 2
; COMPUTE_PGM_RSRC2:TRAP_HANDLER: 0
; COMPUTE_PGM_RSRC2:TGID_X_EN: 1
; COMPUTE_PGM_RSRC2:TGID_Y_EN: 0
; COMPUTE_PGM_RSRC2:TGID_Z_EN: 1
; COMPUTE_PGM_RSRC2:TIDIG_COMP_CNT: 1
	.section	.text._ZL18rocblas_ger_kernelILi32ELi32ELi2ELb1E19rocblas_complex_numIfES1_PKS1_PS1_EviiT4_lT5_lllS6_lllT6_lmli,"axG",@progbits,_ZL18rocblas_ger_kernelILi32ELi32ELi2ELb1E19rocblas_complex_numIfES1_PKS1_PS1_EviiT4_lT5_lllS6_lllT6_lmli,comdat
	.globl	_ZL18rocblas_ger_kernelILi32ELi32ELi2ELb1E19rocblas_complex_numIfES1_PKS1_PS1_EviiT4_lT5_lllS6_lllT6_lmli ; -- Begin function _ZL18rocblas_ger_kernelILi32ELi32ELi2ELb1E19rocblas_complex_numIfES1_PKS1_PS1_EviiT4_lT5_lllS6_lllT6_lmli
	.p2align	8
	.type	_ZL18rocblas_ger_kernelILi32ELi32ELi2ELb1E19rocblas_complex_numIfES1_PKS1_PS1_EviiT4_lT5_lllS6_lllT6_lmli,@function
_ZL18rocblas_ger_kernelILi32ELi32ELi2ELb1E19rocblas_complex_numIfES1_PKS1_PS1_EviiT4_lT5_lllS6_lllT6_lmli: ; @_ZL18rocblas_ger_kernelILi32ELi32ELi2ELb1E19rocblas_complex_numIfES1_PKS1_PS1_EviiT4_lT5_lllS6_lllT6_lmli
; %bb.0:
	s_load_b32 s33, s[0:1], 0x78
	s_lshr_b32 s28, ttmp7, 16
	s_wait_kmcnt 0x0
	s_cmp_ge_u32 s28, s33
	s_cbranch_scc1 .LBB30_18
; %bb.1:
	s_load_b128 s[4:7], s[0:1], 0x0
	v_and_b32_e32 v2, 0x3ff, v0
	s_wait_kmcnt 0x0
	s_add_co_i32 s2, s4, -1
	s_delay_alu instid0(SALU_CYCLE_1) | instskip(NEXT) | instid1(SALU_CYCLE_1)
	s_ashr_i32 s3, s2, 31
	s_lshr_b32 s3, s3, 27
	s_delay_alu instid0(SALU_CYCLE_1) | instskip(NEXT) | instid1(SALU_CYCLE_1)
	s_add_co_i32 s2, s2, s3
	s_ashr_i32 s29, s2, 5
	s_delay_alu instid0(SALU_CYCLE_1) | instskip(NEXT) | instid1(SALU_CYCLE_1)
	s_add_co_i32 s34, s29, 1
	s_cvt_f32_u32 s2, s34
	s_delay_alu instid0(SALU_CYCLE_3) | instskip(SKIP_3) | instid1(TRANS32_DEP_1)
	v_rcp_iflag_f32_e32 v1, s2
	s_clause 0x1
	s_load_b64 s[2:3], s[0:1], 0x18
	s_load_b256 s[8:15], s[0:1], 0x50
	v_readfirstlane_b32 s16, v1
	v_bfe_u32 v1, v0, 10, 10
	s_mul_f32 s30, s16, 0x4f7ffffe
	s_clause 0x1
	s_load_b256 s[16:23], s[0:1], 0x30
	s_load_b128 s[24:27], s[0:1], 0x20
	v_lshlrev_b32_e32 v0, 1, v1
	v_lshlrev_b32_e32 v6, 4, v1
	s_cvt_u32_f32 s35, s30
	s_load_b64 s[30:31], s[0:1], 0x70
	s_not_b32 s0, s29
	s_delay_alu instid0(SALU_CYCLE_1) | instskip(NEXT) | instid1(SALU_CYCLE_1)
	s_mul_i32 s0, s0, s35
	s_mul_hi_u32 s1, s35, s0
	v_cmp_eq_u32_e64 s0, 0, v1
	s_add_co_i32 s35, s35, s1
	s_delay_alu instid0(SALU_CYCLE_1) | instskip(NEXT) | instid1(SALU_CYCLE_1)
	s_mul_hi_u32 s29, ttmp9, s35
	s_mul_i32 s35, s29, s34
	s_add_co_i32 s36, s29, 1
	s_sub_co_i32 s35, ttmp9, s35
	s_delay_alu instid0(SALU_CYCLE_1)
	s_sub_co_i32 s37, s35, s34
	s_cmp_ge_u32 s35, s34
	s_cselect_b32 s29, s36, s29
	s_cselect_b32 s35, s37, s35
	s_add_co_i32 s36, s29, 1
	s_cmp_ge_u32 s35, s34
	s_cselect_b32 s29, s36, s29
	s_wait_kmcnt 0x0
	s_lshl_b64 s[12:13], s[12:13], 3
	v_lshl_add_u32 v1, s29, 6, v0
	s_lshl_b64 s[20:21], s[20:21], 3
	s_lshl_b64 s[24:25], s[24:25], 3
	s_mul_i32 s29, s29, s34
	s_add_nc_u64 s[10:11], s[10:11], s[12:13]
	v_or_b32_e32 v15, v1, v2
	s_add_nc_u64 s[12:13], s[18:19], s[20:21]
	s_add_nc_u64 s[18:19], s[2:3], s[24:25]
	s_wait_alu 0xfffe
	s_sub_co_i32 s2, ttmp9, s29
	v_ashrrev_i32_e32 v11, 31, v1
	v_mad_co_u64_u32 v[4:5], null, s22, v15, 0
	v_mul_lo_u32 v16, s15, v1
	v_or_b32_e32 v17, 1, v1
	s_delay_alu instid0(VALU_DEP_4) | instskip(SKIP_3) | instid1(VALU_DEP_4)
	v_mul_lo_u32 v19, s14, v11
	s_or_b32 s35, s6, s7
	s_mov_b32 s29, 0
	s_bitset0_b32 s35, 31
	v_mad_co_u64_u32 v[13:14], null, s23, v15, v[5:6]
	v_mul_lo_u32 v21, s15, v17
	v_mad_co_u64_u32 v[11:12], null, s14, v17, 0
	s_cmp_lg_u32 s35, 0
	v_mov_b32_e32 v5, v13
	v_lshlrev_b32_e32 v3, 3, v2
	s_wait_alu 0xfffe
	v_lshl_add_u32 v0, s2, 5, v2
	v_cmp_gt_u32_e64 s1, 2, v2
	v_cmp_gt_i32_e64 s2, s5, v1
	v_add3_u32 v12, v12, v19, v21
	v_add_nc_u32_e32 v7, 0x200, v3
	v_add_nc_u32_e32 v8, v6, v3
	v_mad_co_u64_u32 v[2:3], null, s14, v1, 0
	v_ashrrev_i32_e32 v1, 31, v0
	v_mul_lo_u32 v18, s27, v0
	v_mad_co_u64_u32 v[9:10], null, s26, v0, 0
	v_cmp_gt_i32_e64 s3, s4, v0
	s_delay_alu instid0(VALU_DEP_4)
	v_mul_lo_u32 v20, s26, v1
	v_lshlrev_b64_e32 v[0:1], 3, v[0:1]
	v_cmp_gt_u32_e64 s4, s5, v15
	v_add3_u32 v3, v3, v19, v16
	v_lshlrev_b64_e32 v[4:5], 3, v[4:5]
	v_cmp_gt_i32_e64 s5, s5, v17
	v_add3_u32 v10, v10, v20, v18
	s_delay_alu instid0(VALU_DEP_1) | instskip(SKIP_1) | instid1(VALU_DEP_1)
	v_lshlrev_b64_e32 v[14:15], 3, v[9:10]
	v_add_co_u32 v9, vcc_lo, s10, v0
	v_add_co_ci_u32_e64 v10, null, s11, v1, vcc_lo
	v_lshlrev_b64_e32 v[0:1], 3, v[2:3]
	v_lshlrev_b64_e32 v[2:3], 3, v[11:12]
	v_add_co_u32 v11, vcc_lo, s18, v14
	s_wait_alu 0xfffd
	v_add_co_ci_u32_e64 v12, null, s19, v15, vcc_lo
	v_add_co_u32 v13, vcc_lo, s12, v4
	s_wait_alu 0xfffd
	v_add_co_ci_u32_e64 v14, null, s13, v5, vcc_lo
	s_cselect_b32 s10, -1, 0
	s_branch .LBB30_4
.LBB30_2:                               ;   in Loop: Header=BB30_4 Depth=1
	s_wait_alu 0xfffe
	s_or_b32 exec_lo, exec_lo, s11
.LBB30_3:                               ;   in Loop: Header=BB30_4 Depth=1
	s_add_co_i32 s28, s28, 0x10000
	s_wait_alu 0xfffe
	s_cmp_lt_u32 s28, s33
	s_cbranch_scc0 .LBB30_18
.LBB30_4:                               ; =>This Inner Loop Header: Depth=1
	s_wait_alu 0xfffe
	s_and_not1_b32 vcc_lo, exec_lo, s10
	s_wait_alu 0xfffe
	s_cbranch_vccnz .LBB30_3
; %bb.5:                                ;   in Loop: Header=BB30_4 Depth=1
	s_and_saveexec_b32 s11, s0
	s_cbranch_execz .LBB30_9
; %bb.6:                                ;   in Loop: Header=BB30_4 Depth=1
	v_dual_mov_b32 v4, 0 :: v_dual_mov_b32 v5, 0
	s_and_saveexec_b32 s12, s3
	s_cbranch_execz .LBB30_8
; %bb.7:                                ;   in Loop: Header=BB30_4 Depth=1
	s_mul_u64 s[14:15], s[16:17], s[28:29]
	s_wait_alu 0xfffe
	s_lshl_b64 s[14:15], s[14:15], 3
	s_wait_alu 0xfffe
	v_add_co_u32 v4, vcc_lo, v11, s14
	s_wait_alu 0xfffd
	v_add_co_ci_u32_e64 v5, null, s15, v12, vcc_lo
	global_load_b64 v[4:5], v[4:5], off
.LBB30_8:                               ;   in Loop: Header=BB30_4 Depth=1
	s_wait_alu 0xfffe
	s_or_b32 exec_lo, exec_lo, s12
	s_wait_loadcnt 0x0
	ds_store_b64 v7, v[4:5]
.LBB30_9:                               ;   in Loop: Header=BB30_4 Depth=1
	s_wait_alu 0xfffe
	s_or_b32 exec_lo, exec_lo, s11
	s_and_saveexec_b32 s11, s1
	s_cbranch_execz .LBB30_13
; %bb.10:                               ;   in Loop: Header=BB30_4 Depth=1
	v_dual_mov_b32 v4, 0 :: v_dual_mov_b32 v5, 0
	s_and_saveexec_b32 s12, s4
	s_cbranch_execz .LBB30_12
; %bb.11:                               ;   in Loop: Header=BB30_4 Depth=1
	s_mul_u64 s[14:15], s[8:9], s[28:29]
	s_wait_alu 0xfffe
	s_lshl_b64 s[14:15], s[14:15], 3
	s_wait_alu 0xfffe
	v_add_co_u32 v4, vcc_lo, v13, s14
	s_wait_alu 0xfffd
	v_add_co_ci_u32_e64 v5, null, s15, v14, vcc_lo
	global_load_b64 v[4:5], v[4:5], off
.LBB30_12:                              ;   in Loop: Header=BB30_4 Depth=1
	s_wait_alu 0xfffe
	s_or_b32 exec_lo, exec_lo, s12
	s_wait_loadcnt 0x0
	ds_store_b64 v8, v[4:5]
.LBB30_13:                              ;   in Loop: Header=BB30_4 Depth=1
	s_wait_alu 0xfffe
	s_or_b32 exec_lo, exec_lo, s11
	s_wait_dscnt 0x0
	s_barrier_signal -1
	s_barrier_wait -1
	global_inv scope:SCOPE_SE
	s_and_saveexec_b32 s11, s3
	s_cbranch_execz .LBB30_2
; %bb.14:                               ;   in Loop: Header=BB30_4 Depth=1
	ds_load_b64 v[15:16], v7
	s_mul_u64 s[12:13], s[30:31], s[28:29]
	s_wait_alu 0xfffe
	s_lshl_b64 s[12:13], s[12:13], 3
	s_wait_dscnt 0x0
	v_mul_f32_e32 v4, s6, v16
	s_delay_alu instid0(VALU_DEP_1) | instskip(NEXT) | instid1(VALU_DEP_1)
	v_dual_mul_f32 v5, s7, v16 :: v_dual_fmac_f32 v4, s7, v15
	v_fma_f32 v5, v15, s6, -v5
	s_wait_alu 0xfffe
	v_add_co_u32 v15, vcc_lo, v9, s12
	s_wait_alu 0xfffd
	v_add_co_ci_u32_e64 v16, null, s13, v10, vcc_lo
	s_and_saveexec_b32 s12, s2
	s_cbranch_execz .LBB30_16
; %bb.15:                               ;   in Loop: Header=BB30_4 Depth=1
	v_add_co_u32 v17, vcc_lo, v15, v0
	s_wait_alu 0xfffd
	v_add_co_ci_u32_e64 v18, null, v16, v1, vcc_lo
	ds_load_b64 v[21:22], v6
	global_load_b64 v[19:20], v[17:18], off
	s_wait_dscnt 0x0
	v_mul_f32_e32 v23, v4, v22
	s_delay_alu instid0(VALU_DEP_1) | instskip(SKIP_1) | instid1(VALU_DEP_1)
	v_fmac_f32_e32 v23, v5, v21
	s_wait_loadcnt 0x0
	v_dual_mul_f32 v22, v5, v22 :: v_dual_add_f32 v19, v19, v23
	s_delay_alu instid0(VALU_DEP_1) | instskip(NEXT) | instid1(VALU_DEP_1)
	v_fma_f32 v21, v4, v21, -v22
	v_add_f32_e32 v20, v21, v20
	global_store_b64 v[17:18], v[19:20], off
.LBB30_16:                              ;   in Loop: Header=BB30_4 Depth=1
	s_wait_alu 0xfffe
	s_or_b32 exec_lo, exec_lo, s12
	s_delay_alu instid0(SALU_CYCLE_1)
	s_and_b32 exec_lo, exec_lo, s5
	s_cbranch_execz .LBB30_2
; %bb.17:                               ;   in Loop: Header=BB30_4 Depth=1
	v_add_co_u32 v15, vcc_lo, v15, v2
	s_wait_alu 0xfffd
	v_add_co_ci_u32_e64 v16, null, v16, v3, vcc_lo
	ds_load_b64 v[19:20], v6 offset:8
	global_load_b64 v[17:18], v[15:16], off
	s_wait_dscnt 0x0
	v_mul_f32_e32 v21, v4, v20
	v_mul_f32_e32 v20, v5, v20
	s_delay_alu instid0(VALU_DEP_2) | instskip(NEXT) | instid1(VALU_DEP_2)
	v_fmac_f32_e32 v21, v5, v19
	v_fma_f32 v5, v4, v19, -v20
	s_wait_loadcnt 0x0
	s_delay_alu instid0(VALU_DEP_2) | instskip(NEXT) | instid1(VALU_DEP_2)
	v_add_f32_e32 v4, v17, v21
	v_add_f32_e32 v5, v5, v18
	global_store_b64 v[15:16], v[4:5], off
	s_branch .LBB30_2
.LBB30_18:
	s_endpgm
	.section	.rodata,"a",@progbits
	.p2align	6, 0x0
	.amdhsa_kernel _ZL18rocblas_ger_kernelILi32ELi32ELi2ELb1E19rocblas_complex_numIfES1_PKS1_PS1_EviiT4_lT5_lllS6_lllT6_lmli
		.amdhsa_group_segment_fixed_size 768
		.amdhsa_private_segment_fixed_size 0
		.amdhsa_kernarg_size 124
		.amdhsa_user_sgpr_count 2
		.amdhsa_user_sgpr_dispatch_ptr 0
		.amdhsa_user_sgpr_queue_ptr 0
		.amdhsa_user_sgpr_kernarg_segment_ptr 1
		.amdhsa_user_sgpr_dispatch_id 0
		.amdhsa_user_sgpr_private_segment_size 0
		.amdhsa_wavefront_size32 1
		.amdhsa_uses_dynamic_stack 0
		.amdhsa_enable_private_segment 0
		.amdhsa_system_sgpr_workgroup_id_x 1
		.amdhsa_system_sgpr_workgroup_id_y 0
		.amdhsa_system_sgpr_workgroup_id_z 1
		.amdhsa_system_sgpr_workgroup_info 0
		.amdhsa_system_vgpr_workitem_id 1
		.amdhsa_next_free_vgpr 24
		.amdhsa_next_free_sgpr 38
		.amdhsa_reserve_vcc 1
		.amdhsa_float_round_mode_32 0
		.amdhsa_float_round_mode_16_64 0
		.amdhsa_float_denorm_mode_32 3
		.amdhsa_float_denorm_mode_16_64 3
		.amdhsa_fp16_overflow 0
		.amdhsa_workgroup_processor_mode 1
		.amdhsa_memory_ordered 1
		.amdhsa_forward_progress 1
		.amdhsa_inst_pref_size 10
		.amdhsa_round_robin_scheduling 0
		.amdhsa_exception_fp_ieee_invalid_op 0
		.amdhsa_exception_fp_denorm_src 0
		.amdhsa_exception_fp_ieee_div_zero 0
		.amdhsa_exception_fp_ieee_overflow 0
		.amdhsa_exception_fp_ieee_underflow 0
		.amdhsa_exception_fp_ieee_inexact 0
		.amdhsa_exception_int_div_zero 0
	.end_amdhsa_kernel
	.section	.text._ZL18rocblas_ger_kernelILi32ELi32ELi2ELb1E19rocblas_complex_numIfES1_PKS1_PS1_EviiT4_lT5_lllS6_lllT6_lmli,"axG",@progbits,_ZL18rocblas_ger_kernelILi32ELi32ELi2ELb1E19rocblas_complex_numIfES1_PKS1_PS1_EviiT4_lT5_lllS6_lllT6_lmli,comdat
.Lfunc_end30:
	.size	_ZL18rocblas_ger_kernelILi32ELi32ELi2ELb1E19rocblas_complex_numIfES1_PKS1_PS1_EviiT4_lT5_lllS6_lllT6_lmli, .Lfunc_end30-_ZL18rocblas_ger_kernelILi32ELi32ELi2ELb1E19rocblas_complex_numIfES1_PKS1_PS1_EviiT4_lT5_lllS6_lllT6_lmli
                                        ; -- End function
	.set _ZL18rocblas_ger_kernelILi32ELi32ELi2ELb1E19rocblas_complex_numIfES1_PKS1_PS1_EviiT4_lT5_lllS6_lllT6_lmli.num_vgpr, 24
	.set _ZL18rocblas_ger_kernelILi32ELi32ELi2ELb1E19rocblas_complex_numIfES1_PKS1_PS1_EviiT4_lT5_lllS6_lllT6_lmli.num_agpr, 0
	.set _ZL18rocblas_ger_kernelILi32ELi32ELi2ELb1E19rocblas_complex_numIfES1_PKS1_PS1_EviiT4_lT5_lllS6_lllT6_lmli.numbered_sgpr, 38
	.set _ZL18rocblas_ger_kernelILi32ELi32ELi2ELb1E19rocblas_complex_numIfES1_PKS1_PS1_EviiT4_lT5_lllS6_lllT6_lmli.num_named_barrier, 0
	.set _ZL18rocblas_ger_kernelILi32ELi32ELi2ELb1E19rocblas_complex_numIfES1_PKS1_PS1_EviiT4_lT5_lllS6_lllT6_lmli.private_seg_size, 0
	.set _ZL18rocblas_ger_kernelILi32ELi32ELi2ELb1E19rocblas_complex_numIfES1_PKS1_PS1_EviiT4_lT5_lllS6_lllT6_lmli.uses_vcc, 1
	.set _ZL18rocblas_ger_kernelILi32ELi32ELi2ELb1E19rocblas_complex_numIfES1_PKS1_PS1_EviiT4_lT5_lllS6_lllT6_lmli.uses_flat_scratch, 0
	.set _ZL18rocblas_ger_kernelILi32ELi32ELi2ELb1E19rocblas_complex_numIfES1_PKS1_PS1_EviiT4_lT5_lllS6_lllT6_lmli.has_dyn_sized_stack, 0
	.set _ZL18rocblas_ger_kernelILi32ELi32ELi2ELb1E19rocblas_complex_numIfES1_PKS1_PS1_EviiT4_lT5_lllS6_lllT6_lmli.has_recursion, 0
	.set _ZL18rocblas_ger_kernelILi32ELi32ELi2ELb1E19rocblas_complex_numIfES1_PKS1_PS1_EviiT4_lT5_lllS6_lllT6_lmli.has_indirect_call, 0
	.section	.AMDGPU.csdata,"",@progbits
; Kernel info:
; codeLenInByte = 1180
; TotalNumSgprs: 40
; NumVgprs: 24
; ScratchSize: 0
; MemoryBound: 0
; FloatMode: 240
; IeeeMode: 1
; LDSByteSize: 768 bytes/workgroup (compile time only)
; SGPRBlocks: 0
; VGPRBlocks: 2
; NumSGPRsForWavesPerEU: 40
; NumVGPRsForWavesPerEU: 24
; Occupancy: 16
; WaveLimiterHint : 1
; COMPUTE_PGM_RSRC2:SCRATCH_EN: 0
; COMPUTE_PGM_RSRC2:USER_SGPR: 2
; COMPUTE_PGM_RSRC2:TRAP_HANDLER: 0
; COMPUTE_PGM_RSRC2:TGID_X_EN: 1
; COMPUTE_PGM_RSRC2:TGID_Y_EN: 0
; COMPUTE_PGM_RSRC2:TGID_Z_EN: 1
; COMPUTE_PGM_RSRC2:TIDIG_COMP_CNT: 1
	.section	.text._ZL34rocblas_ger_double_buffered_kernelILb1ELi64ELi16ELi2E19rocblas_complex_numIdE24rocblas_internal_val_ptrIS1_EPKS1_PS1_EvbiiT4_lT5_lllS8_lllT6_lmli,"axG",@progbits,_ZL34rocblas_ger_double_buffered_kernelILb1ELi64ELi16ELi2E19rocblas_complex_numIdE24rocblas_internal_val_ptrIS1_EPKS1_PS1_EvbiiT4_lT5_lllS8_lllT6_lmli,comdat
	.globl	_ZL34rocblas_ger_double_buffered_kernelILb1ELi64ELi16ELi2E19rocblas_complex_numIdE24rocblas_internal_val_ptrIS1_EPKS1_PS1_EvbiiT4_lT5_lllS8_lllT6_lmli ; -- Begin function _ZL34rocblas_ger_double_buffered_kernelILb1ELi64ELi16ELi2E19rocblas_complex_numIdE24rocblas_internal_val_ptrIS1_EPKS1_PS1_EvbiiT4_lT5_lllS8_lllT6_lmli
	.p2align	8
	.type	_ZL34rocblas_ger_double_buffered_kernelILb1ELi64ELi16ELi2E19rocblas_complex_numIdE24rocblas_internal_val_ptrIS1_EPKS1_PS1_EvbiiT4_lT5_lllS8_lllT6_lmli,@function
_ZL34rocblas_ger_double_buffered_kernelILb1ELi64ELi16ELi2E19rocblas_complex_numIdE24rocblas_internal_val_ptrIS1_EPKS1_PS1_EvbiiT4_lT5_lllS8_lllT6_lmli: ; @_ZL34rocblas_ger_double_buffered_kernelILb1ELi64ELi16ELi2E19rocblas_complex_numIdE24rocblas_internal_val_ptrIS1_EPKS1_PS1_EvbiiT4_lT5_lllS8_lllT6_lmli
; %bb.0:
	s_load_b32 s33, s[0:1], 0x88
	s_lshr_b32 s2, ttmp7, 16
	s_wait_kmcnt 0x0
	s_cmp_ge_u32 s2, s33
	s_cbranch_scc1 .LBB31_7
; %bb.1:
	v_lshrrev_b32_e32 v1, 4, v0
	v_and_b32_e32 v2, 0x3ff, v0
	s_clause 0x2
	s_load_b256 s[4:11], s[0:1], 0x60
	s_load_b256 s[12:19], s[0:1], 0x20
	;; [unrolled: 1-line block ×3, first 2 shown]
	v_and_b32_e32 v14, 31, v0
	s_load_b32 s36, s[0:1], 0x0
	v_and_b32_e32 v1, 0xffc0, v1
	s_clause 0x1
	s_load_b128 s[28:31], s[0:1], 0x10
	s_load_b64 s[34:35], s[0:1], 0x80
	s_mov_b32 s3, 0
	v_or_b32_e32 v16, 32, v14
	s_mov_b32 s1, s3
	v_add_nc_u32_e32 v1, v1, v2
	s_delay_alu instid0(VALU_DEP_1) | instskip(NEXT) | instid1(VALU_DEP_1)
	v_lshrrev_b32_e32 v9, 4, v1
	v_and_b32_e32 v15, 0x1ffe, v9
	s_wait_kmcnt 0x0
	v_mad_co_u64_u32 v[2:3], null, s18, v14, 0
	v_mad_co_u64_u32 v[4:5], null, s18, v16, 0
	s_delay_alu instid0(VALU_DEP_3)
	v_mad_co_u64_u32 v[0:1], null, s10, v15, 0
	v_mad_co_u64_u32 v[10:11], null, s26, v15, 0
	s_bitcmp1_b32 s36, 0
	s_cselect_b32 s38, -1, 0
	s_lshl_b32 s36, ttmp9, 6
	v_mad_co_u64_u32 v[6:7], null, s11, v15, v[1:2]
	v_mad_co_u64_u32 v[7:8], null, s19, v14, v[3:4]
	v_or_b32_e32 v8, 1, v9
	s_lshl_b64 s[8:9], s[8:9], 4
	s_lshl_b64 s[16:17], s[16:17], 4
	s_and_b32 s0, ttmp7, 0xffff
	s_delay_alu instid0(VALU_DEP_3)
	v_mov_b32_e32 v1, v6
	v_mad_co_u64_u32 v[12:13], null, s26, v8, 0
	v_mad_co_u64_u32 v[5:6], null, s19, v16, v[5:6]
	v_dual_mov_b32 v3, v7 :: v_dual_mov_b32 v6, v11
	s_ashr_i32 s37, s36, 31
	s_add_nc_u64 s[6:7], s[6:7], s[8:9]
	s_delay_alu instid0(VALU_DEP_3)
	v_mov_b32_e32 v7, v13
	s_add_nc_u64 s[14:15], s[14:15], s[16:17]
	s_lshl_b64 s[16:17], s[36:37], 4
	s_lshl_b32 s0, s0, 6
	s_add_nc_u64 s[6:7], s[6:7], s[16:17]
	s_mul_u64 s[16:17], s[10:11], s[0:1]
	v_lshlrev_b64_e32 v[0:1], 4, v[0:1]
	v_lshlrev_b32_e32 v9, 4, v14
	v_mad_co_u64_u32 v[13:14], null, s27, v15, v[6:7]
	v_mad_co_u64_u32 v[6:7], null, s27, v8, v[7:8]
	s_lshl_b64 s[16:17], s[16:17], 4
	s_lshl_b64 s[24:25], s[24:25], 4
	s_add_nc_u64 s[6:7], s[6:7], s[16:17]
	s_add_nc_u64 s[8:9], s[22:23], s[24:25]
	s_mul_u64 s[22:23], s[18:19], s[36:37]
	s_mul_u64 s[0:1], s[26:27], s[0:1]
	v_add_co_u32 v0, vcc_lo, s6, v0
	s_lshl_b64 s[16:17], s[22:23], 4
	s_lshl_b64 s[22:23], s[0:1], 4
	s_xor_b32 s0, s38, -1
	v_add_co_ci_u32_e64 v1, null, s7, v1, vcc_lo
	v_mov_b32_e32 v11, v13
	v_mov_b32_e32 v13, v6
	v_cndmask_b32_e64 v14, 0, 1, s0
	v_add_co_u32 v8, vcc_lo, v0, v9
	s_wait_alu 0xfffd
	v_add_co_ci_u32_e64 v9, null, 0, v1, vcc_lo
	v_lshlrev_b64_e32 v[0:1], 4, v[2:3]
	v_lshlrev_b64_e32 v[2:3], 4, v[4:5]
	;; [unrolled: 1-line block ×4, first 2 shown]
	v_cmp_ne_u32_e64 s0, 1, v14
	s_add_nc_u64 s[6:7], s[14:15], s[16:17]
	s_add_nc_u64 s[14:15], s[8:9], s[22:23]
	s_lshl_b64 s[16:17], s[10:11], 4
	s_branch .LBB31_3
.LBB31_2:                               ;   in Loop: Header=BB31_3 Depth=1
	s_add_co_i32 s2, s2, 0x10000
	s_delay_alu instid0(SALU_CYCLE_1)
	s_cmp_lt_u32 s2, s33
	s_cbranch_scc0 .LBB31_7
.LBB31_3:                               ; =>This Inner Loop Header: Depth=1
	s_and_b32 vcc_lo, exec_lo, s0
	s_mov_b64 s[8:9], s[28:29]
	s_mov_b64 s[10:11], s[30:31]
	s_wait_alu 0xfffe
	s_cbranch_vccnz .LBB31_5
; %bb.4:                                ;   in Loop: Header=BB31_3 Depth=1
	s_mul_u64 s[8:9], s[12:13], s[2:3]
	s_wait_alu 0xfffe
	s_lshl_b64 s[8:9], s[8:9], 4
	s_wait_alu 0xfffe
	s_add_nc_u64 s[8:9], s[28:29], s[8:9]
	s_load_b128 s[8:11], s[8:9], 0x0
.LBB31_5:                               ;   in Loop: Header=BB31_3 Depth=1
	s_wait_kmcnt 0x0
	v_cmp_neq_f64_e64 s1, s[8:9], 0
	v_cmp_neq_f64_e64 s18, s[10:11], 0
	s_or_b32 s1, s1, s18
	s_wait_alu 0xfffe
	s_and_not1_b32 vcc_lo, exec_lo, s1
	s_wait_alu 0xfffe
	s_cbranch_vccnz .LBB31_2
; %bb.6:                                ;   in Loop: Header=BB31_3 Depth=1
	s_mul_u64 s[18:19], s[20:21], s[2:3]
	s_wait_alu 0xfffe
	s_lshl_b64 s[18:19], s[18:19], 4
	s_wait_alu 0xfffe
	s_add_nc_u64 s[18:19], s[6:7], s[18:19]
	s_wait_alu 0xfffe
	v_add_co_u32 v10, vcc_lo, s18, v0
	s_wait_alu 0xfffd
	v_add_co_ci_u32_e64 v11, null, s19, v1, vcc_lo
	v_add_co_u32 v14, vcc_lo, s18, v2
	s_wait_alu 0xfffd
	v_add_co_ci_u32_e64 v15, null, s19, v3, vcc_lo
	s_clause 0x1
	global_load_b128 v[10:13], v[10:11], off
	global_load_b128 v[14:17], v[14:15], off
	s_mul_u64 s[18:19], s[4:5], s[2:3]
	s_wait_alu 0xfffe
	s_lshl_b64 s[18:19], s[18:19], 4
	s_wait_alu 0xfffe
	s_add_nc_u64 s[18:19], s[14:15], s[18:19]
	s_wait_alu 0xfffe
	v_add_co_u32 v18, vcc_lo, s18, v4
	s_wait_alu 0xfffd
	v_add_co_ci_u32_e64 v19, null, s19, v5, vcc_lo
	v_add_co_u32 v22, vcc_lo, s18, v6
	s_wait_alu 0xfffd
	v_add_co_ci_u32_e64 v23, null, s19, v7, vcc_lo
	s_clause 0x1
	global_load_b128 v[18:21], v[18:19], off
	global_load_b128 v[22:25], v[22:23], off
	s_mul_u64 s[18:19], s[34:35], s[2:3]
	s_wait_alu 0xfffe
	s_lshl_b64 s[18:19], s[18:19], 4
	s_wait_alu 0xfffe
	v_add_co_u32 v42, vcc_lo, v8, s18
	s_wait_alu 0xfffd
	v_add_co_ci_u32_e64 v43, null, s19, v9, vcc_lo
	s_delay_alu instid0(VALU_DEP_2) | instskip(SKIP_1) | instid1(VALU_DEP_2)
	v_add_co_u32 v44, vcc_lo, v42, s16
	s_wait_alu 0xfffd
	v_add_co_ci_u32_e64 v45, null, s17, v43, vcc_lo
	s_clause 0x3
	global_load_b128 v[26:29], v[42:43], off
	global_load_b128 v[30:33], v[44:45], off
	global_load_b128 v[34:37], v[42:43], off offset:512
	global_load_b128 v[38:41], v[44:45], off offset:512
	s_wait_loadcnt 0x7
	v_mul_f64_e32 v[46:47], s[8:9], v[12:13]
	v_mul_f64_e32 v[12:13], s[10:11], v[12:13]
	s_wait_loadcnt 0x6
	v_mul_f64_e32 v[48:49], s[8:9], v[16:17]
	v_mul_f64_e32 v[16:17], s[10:11], v[16:17]
	s_delay_alu instid0(VALU_DEP_4) | instskip(NEXT) | instid1(VALU_DEP_4)
	v_fma_f64 v[46:47], s[10:11], v[10:11], v[46:47]
	v_fma_f64 v[10:11], s[8:9], v[10:11], -v[12:13]
	s_delay_alu instid0(VALU_DEP_4) | instskip(NEXT) | instid1(VALU_DEP_4)
	v_fma_f64 v[12:13], s[10:11], v[14:15], v[48:49]
	v_fma_f64 v[14:15], s[8:9], v[14:15], -v[16:17]
	s_wait_loadcnt 0x5
	s_delay_alu instid0(VALU_DEP_4) | instskip(NEXT) | instid1(VALU_DEP_4)
	v_mul_f64_e32 v[16:17], v[46:47], v[20:21]
	v_mul_f64_e32 v[48:49], v[10:11], v[20:21]
	s_wait_loadcnt 0x4
	v_mul_f64_e32 v[50:51], v[46:47], v[24:25]
	v_mul_f64_e32 v[52:53], v[10:11], v[24:25]
	;; [unrolled: 1-line block ×6, first 2 shown]
	v_fma_f64 v[16:17], v[10:11], v[18:19], v[16:17]
	v_fma_f64 v[48:49], v[46:47], v[18:19], -v[48:49]
	v_fma_f64 v[50:51], v[10:11], v[22:23], v[50:51]
	v_fma_f64 v[46:47], v[46:47], v[22:23], -v[52:53]
	;; [unrolled: 2-line block ×4, first 2 shown]
	s_wait_loadcnt 0x3
	v_add_f64_e32 v[10:11], v[26:27], v[16:17]
	v_add_f64_e32 v[12:13], v[48:49], v[28:29]
	s_wait_loadcnt 0x2
	v_add_f64_e32 v[14:15], v[30:31], v[50:51]
	v_add_f64_e32 v[16:17], v[46:47], v[32:33]
	;; [unrolled: 3-line block ×4, first 2 shown]
	s_clause 0x3
	global_store_b128 v[42:43], v[10:13], off
	global_store_b128 v[44:45], v[14:17], off
	global_store_b128 v[42:43], v[18:21], off offset:512
	global_store_b128 v[44:45], v[22:25], off offset:512
	s_branch .LBB31_2
.LBB31_7:
	s_endpgm
	.section	.rodata,"a",@progbits
	.p2align	6, 0x0
	.amdhsa_kernel _ZL34rocblas_ger_double_buffered_kernelILb1ELi64ELi16ELi2E19rocblas_complex_numIdE24rocblas_internal_val_ptrIS1_EPKS1_PS1_EvbiiT4_lT5_lllS8_lllT6_lmli
		.amdhsa_group_segment_fixed_size 0
		.amdhsa_private_segment_fixed_size 0
		.amdhsa_kernarg_size 140
		.amdhsa_user_sgpr_count 2
		.amdhsa_user_sgpr_dispatch_ptr 0
		.amdhsa_user_sgpr_queue_ptr 0
		.amdhsa_user_sgpr_kernarg_segment_ptr 1
		.amdhsa_user_sgpr_dispatch_id 0
		.amdhsa_user_sgpr_private_segment_size 0
		.amdhsa_wavefront_size32 1
		.amdhsa_uses_dynamic_stack 0
		.amdhsa_enable_private_segment 0
		.amdhsa_system_sgpr_workgroup_id_x 1
		.amdhsa_system_sgpr_workgroup_id_y 1
		.amdhsa_system_sgpr_workgroup_id_z 1
		.amdhsa_system_sgpr_workgroup_info 0
		.amdhsa_system_vgpr_workitem_id 1
		.amdhsa_next_free_vgpr 58
		.amdhsa_next_free_sgpr 39
		.amdhsa_reserve_vcc 1
		.amdhsa_float_round_mode_32 0
		.amdhsa_float_round_mode_16_64 0
		.amdhsa_float_denorm_mode_32 3
		.amdhsa_float_denorm_mode_16_64 3
		.amdhsa_fp16_overflow 0
		.amdhsa_workgroup_processor_mode 1
		.amdhsa_memory_ordered 1
		.amdhsa_forward_progress 1
		.amdhsa_inst_pref_size 9
		.amdhsa_round_robin_scheduling 0
		.amdhsa_exception_fp_ieee_invalid_op 0
		.amdhsa_exception_fp_denorm_src 0
		.amdhsa_exception_fp_ieee_div_zero 0
		.amdhsa_exception_fp_ieee_overflow 0
		.amdhsa_exception_fp_ieee_underflow 0
		.amdhsa_exception_fp_ieee_inexact 0
		.amdhsa_exception_int_div_zero 0
	.end_amdhsa_kernel
	.section	.text._ZL34rocblas_ger_double_buffered_kernelILb1ELi64ELi16ELi2E19rocblas_complex_numIdE24rocblas_internal_val_ptrIS1_EPKS1_PS1_EvbiiT4_lT5_lllS8_lllT6_lmli,"axG",@progbits,_ZL34rocblas_ger_double_buffered_kernelILb1ELi64ELi16ELi2E19rocblas_complex_numIdE24rocblas_internal_val_ptrIS1_EPKS1_PS1_EvbiiT4_lT5_lllS8_lllT6_lmli,comdat
.Lfunc_end31:
	.size	_ZL34rocblas_ger_double_buffered_kernelILb1ELi64ELi16ELi2E19rocblas_complex_numIdE24rocblas_internal_val_ptrIS1_EPKS1_PS1_EvbiiT4_lT5_lllS8_lllT6_lmli, .Lfunc_end31-_ZL34rocblas_ger_double_buffered_kernelILb1ELi64ELi16ELi2E19rocblas_complex_numIdE24rocblas_internal_val_ptrIS1_EPKS1_PS1_EvbiiT4_lT5_lllS8_lllT6_lmli
                                        ; -- End function
	.set _ZL34rocblas_ger_double_buffered_kernelILb1ELi64ELi16ELi2E19rocblas_complex_numIdE24rocblas_internal_val_ptrIS1_EPKS1_PS1_EvbiiT4_lT5_lllS8_lllT6_lmli.num_vgpr, 58
	.set _ZL34rocblas_ger_double_buffered_kernelILb1ELi64ELi16ELi2E19rocblas_complex_numIdE24rocblas_internal_val_ptrIS1_EPKS1_PS1_EvbiiT4_lT5_lllS8_lllT6_lmli.num_agpr, 0
	.set _ZL34rocblas_ger_double_buffered_kernelILb1ELi64ELi16ELi2E19rocblas_complex_numIdE24rocblas_internal_val_ptrIS1_EPKS1_PS1_EvbiiT4_lT5_lllS8_lllT6_lmli.numbered_sgpr, 39
	.set _ZL34rocblas_ger_double_buffered_kernelILb1ELi64ELi16ELi2E19rocblas_complex_numIdE24rocblas_internal_val_ptrIS1_EPKS1_PS1_EvbiiT4_lT5_lllS8_lllT6_lmli.num_named_barrier, 0
	.set _ZL34rocblas_ger_double_buffered_kernelILb1ELi64ELi16ELi2E19rocblas_complex_numIdE24rocblas_internal_val_ptrIS1_EPKS1_PS1_EvbiiT4_lT5_lllS8_lllT6_lmli.private_seg_size, 0
	.set _ZL34rocblas_ger_double_buffered_kernelILb1ELi64ELi16ELi2E19rocblas_complex_numIdE24rocblas_internal_val_ptrIS1_EPKS1_PS1_EvbiiT4_lT5_lllS8_lllT6_lmli.uses_vcc, 1
	.set _ZL34rocblas_ger_double_buffered_kernelILb1ELi64ELi16ELi2E19rocblas_complex_numIdE24rocblas_internal_val_ptrIS1_EPKS1_PS1_EvbiiT4_lT5_lllS8_lllT6_lmli.uses_flat_scratch, 0
	.set _ZL34rocblas_ger_double_buffered_kernelILb1ELi64ELi16ELi2E19rocblas_complex_numIdE24rocblas_internal_val_ptrIS1_EPKS1_PS1_EvbiiT4_lT5_lllS8_lllT6_lmli.has_dyn_sized_stack, 0
	.set _ZL34rocblas_ger_double_buffered_kernelILb1ELi64ELi16ELi2E19rocblas_complex_numIdE24rocblas_internal_val_ptrIS1_EPKS1_PS1_EvbiiT4_lT5_lllS8_lllT6_lmli.has_recursion, 0
	.set _ZL34rocblas_ger_double_buffered_kernelILb1ELi64ELi16ELi2E19rocblas_complex_numIdE24rocblas_internal_val_ptrIS1_EPKS1_PS1_EvbiiT4_lT5_lllS8_lllT6_lmli.has_indirect_call, 0
	.section	.AMDGPU.csdata,"",@progbits
; Kernel info:
; codeLenInByte = 1128
; TotalNumSgprs: 41
; NumVgprs: 58
; ScratchSize: 0
; MemoryBound: 1
; FloatMode: 240
; IeeeMode: 1
; LDSByteSize: 0 bytes/workgroup (compile time only)
; SGPRBlocks: 0
; VGPRBlocks: 7
; NumSGPRsForWavesPerEU: 41
; NumVGPRsForWavesPerEU: 58
; Occupancy: 16
; WaveLimiterHint : 0
; COMPUTE_PGM_RSRC2:SCRATCH_EN: 0
; COMPUTE_PGM_RSRC2:USER_SGPR: 2
; COMPUTE_PGM_RSRC2:TRAP_HANDLER: 0
; COMPUTE_PGM_RSRC2:TGID_X_EN: 1
; COMPUTE_PGM_RSRC2:TGID_Y_EN: 1
; COMPUTE_PGM_RSRC2:TGID_Z_EN: 1
; COMPUTE_PGM_RSRC2:TIDIG_COMP_CNT: 1
	.section	.text._ZL18rocblas_ger_kernelILi32ELi32ELi2ELb1E19rocblas_complex_numIdEPKS1_S3_PS1_EviiT4_lT5_lllS6_lllT6_lmli,"axG",@progbits,_ZL18rocblas_ger_kernelILi32ELi32ELi2ELb1E19rocblas_complex_numIdEPKS1_S3_PS1_EviiT4_lT5_lllS6_lllT6_lmli,comdat
	.globl	_ZL18rocblas_ger_kernelILi32ELi32ELi2ELb1E19rocblas_complex_numIdEPKS1_S3_PS1_EviiT4_lT5_lllS6_lllT6_lmli ; -- Begin function _ZL18rocblas_ger_kernelILi32ELi32ELi2ELb1E19rocblas_complex_numIdEPKS1_S3_PS1_EviiT4_lT5_lllS6_lllT6_lmli
	.p2align	8
	.type	_ZL18rocblas_ger_kernelILi32ELi32ELi2ELb1E19rocblas_complex_numIdEPKS1_S3_PS1_EviiT4_lT5_lllS6_lllT6_lmli,@function
_ZL18rocblas_ger_kernelILi32ELi32ELi2ELb1E19rocblas_complex_numIdEPKS1_S3_PS1_EviiT4_lT5_lllS6_lllT6_lmli: ; @_ZL18rocblas_ger_kernelILi32ELi32ELi2ELb1E19rocblas_complex_numIdEPKS1_S3_PS1_EviiT4_lT5_lllS6_lllT6_lmli
; %bb.0:
	s_load_b32 s33, s[0:1], 0x78
	s_lshr_b32 s28, ttmp7, 16
	s_wait_kmcnt 0x0
	s_cmp_ge_u32 s28, s33
	s_cbranch_scc1 .LBB32_18
; %bb.1:
	s_clause 0x3
	s_load_b64 s[34:35], s[0:1], 0x0
	s_load_b128 s[24:27], s[0:1], 0x8
	s_load_b256 s[8:15], s[0:1], 0x50
	s_load_b256 s[16:23], s[0:1], 0x30
	v_and_b32_e32 v2, 0x3ff, v0
	s_wait_kmcnt 0x0
	s_add_co_i32 s2, s34, -1
	s_delay_alu instid0(SALU_CYCLE_1) | instskip(NEXT) | instid1(SALU_CYCLE_1)
	s_ashr_i32 s3, s2, 31
	s_lshr_b32 s3, s3, 27
	s_delay_alu instid0(SALU_CYCLE_1) | instskip(NEXT) | instid1(SALU_CYCLE_1)
	s_add_co_i32 s2, s2, s3
	s_ashr_i32 s29, s2, 5
	s_delay_alu instid0(SALU_CYCLE_1) | instskip(NEXT) | instid1(SALU_CYCLE_1)
	s_add_co_i32 s36, s29, 1
	s_cvt_f32_u32 s2, s36
	s_delay_alu instid0(SALU_CYCLE_3) | instskip(NEXT) | instid1(TRANS32_DEP_1)
	v_rcp_iflag_f32_e32 v1, s2
	v_readfirstlane_b32 s2, v1
	v_bfe_u32 v1, v0, 10, 10
	s_mul_f32 s30, s2, 0x4f7ffffe
	s_clause 0x1
	s_load_b64 s[2:3], s[0:1], 0x18
	s_load_b128 s[4:7], s[0:1], 0x20
	v_lshlrev_b32_e32 v0, 1, v1
	v_lshlrev_b32_e32 v12, 5, v1
	s_cvt_u32_f32 s37, s30
	s_load_b64 s[30:31], s[0:1], 0x70
	s_not_b32 s0, s29
	s_delay_alu instid0(SALU_CYCLE_1) | instskip(NEXT) | instid1(SALU_CYCLE_1)
	s_mul_i32 s0, s0, s37
	s_mul_hi_u32 s1, s37, s0
	v_cmp_eq_u32_e64 s0, 0, v1
	s_add_co_i32 s37, s37, s1
	s_delay_alu instid0(SALU_CYCLE_1) | instskip(NEXT) | instid1(SALU_CYCLE_1)
	s_mul_hi_u32 s29, ttmp9, s37
	s_mul_i32 s37, s29, s36
	s_add_co_i32 s38, s29, 1
	s_sub_co_i32 s37, ttmp9, s37
	s_delay_alu instid0(SALU_CYCLE_1)
	s_sub_co_i32 s39, s37, s36
	s_cmp_ge_u32 s37, s36
	s_cselect_b32 s29, s38, s29
	s_cselect_b32 s37, s39, s37
	s_add_co_i32 s38, s29, 1
	s_cmp_ge_u32 s37, s36
	s_cselect_b32 s29, s38, s29
	s_lshl_b64 s[12:13], s[12:13], 4
	v_lshl_add_u32 v1, s29, 6, v0
	s_lshl_b64 s[20:21], s[20:21], 4
	s_mul_i32 s29, s29, s36
	s_add_nc_u64 s[10:11], s[10:11], s[12:13]
	s_add_nc_u64 s[12:13], s[18:19], s[20:21]
	s_wait_alu 0xfffe
	s_sub_co_i32 s20, ttmp9, s29
	v_or_b32_e32 v15, v1, v2
	v_lshl_add_u32 v0, s20, 5, v2
	v_ashrrev_i32_e32 v8, 31, v1
	s_wait_kmcnt 0x0
	s_lshl_b64 s[4:5], s[4:5], 4
	v_mul_lo_u32 v16, s15, v1
	v_mad_co_u64_u32 v[4:5], null, s22, v15, 0
	v_mad_co_u64_u32 v[6:7], null, s6, v0, 0
	v_mul_lo_u32 v19, s14, v8
	s_add_nc_u64 s[18:19], s[2:3], s[4:5]
	v_cmp_gt_i32_e64 s2, s35, v1
	v_or_b32_e32 v17, 1, v1
	v_mul_lo_u32 v18, s7, v0
	v_cmp_gt_i32_e64 s3, s34, v0
	v_mad_co_u64_u32 v[8:9], null, s23, v15, v[5:6]
	s_delay_alu instid0(VALU_DEP_4)
	v_mul_lo_u32 v21, s15, v17
	v_mad_co_u64_u32 v[10:11], null, s14, v17, 0
	v_cmp_gt_u32_e64 s4, s35, v15
	v_cmp_gt_i32_e64 s5, s35, v17
	s_mov_b32 s29, 0
	v_mov_b32_e32 v5, v8
	v_lshlrev_b32_e32 v3, 4, v2
	v_cmp_gt_u32_e64 s1, 2, v2
	v_add3_u32 v11, v11, v19, v21
	v_mov_b32_e32 v21, 0
	s_delay_alu instid0(VALU_DEP_4) | instskip(SKIP_4) | instid1(VALU_DEP_2)
	v_add_nc_u32_e32 v13, 0x400, v3
	v_add_nc_u32_e32 v14, v12, v3
	v_mad_co_u64_u32 v[2:3], null, s14, v1, 0
	v_ashrrev_i32_e32 v1, 31, v0
	v_lshlrev_b64_e32 v[10:11], 4, v[10:11]
	v_mul_lo_u32 v20, s6, v1
	v_lshlrev_b64_e32 v[0:1], 4, v[0:1]
	v_add3_u32 v3, v3, v19, v16
	s_delay_alu instid0(VALU_DEP_2) | instskip(NEXT) | instid1(VALU_DEP_4)
	v_add_co_u32 v15, vcc_lo, s10, v0
	v_add3_u32 v7, v7, v20, v18
	s_delay_alu instid0(VALU_DEP_4) | instskip(SKIP_2) | instid1(VALU_DEP_4)
	v_add_co_ci_u32_e64 v16, null, s11, v1, vcc_lo
	v_lshlrev_b64_e32 v[0:1], 4, v[4:5]
	v_lshlrev_b64_e32 v[8:9], 4, v[2:3]
	;; [unrolled: 1-line block ×3, first 2 shown]
	s_delay_alu instid0(VALU_DEP_1) | instskip(SKIP_1) | instid1(VALU_DEP_2)
	v_add_co_u32 v17, vcc_lo, s18, v6
	s_wait_alu 0xfffd
	v_add_co_ci_u32_e64 v18, null, s19, v7, vcc_lo
	v_add_co_u32 v19, vcc_lo, s12, v0
	s_wait_alu 0xfffd
	v_add_co_ci_u32_e64 v20, null, s13, v1, vcc_lo
	s_branch .LBB32_4
.LBB32_2:                               ;   in Loop: Header=BB32_4 Depth=1
	s_wait_alu 0xfffe
	s_or_b32 exec_lo, exec_lo, s6
.LBB32_3:                               ;   in Loop: Header=BB32_4 Depth=1
	s_add_co_i32 s28, s28, 0x10000
	s_wait_alu 0xfffe
	s_cmp_lt_u32 s28, s33
	s_cbranch_scc0 .LBB32_18
.LBB32_4:                               ; =>This Inner Loop Header: Depth=1
	s_wait_alu 0xfffe
	s_mul_u64 s[6:7], s[26:27], s[28:29]
	s_wait_alu 0xfffe
	s_lshl_b64 s[6:7], s[6:7], 4
	s_wait_alu 0xfffe
	s_add_nc_u64 s[6:7], s[24:25], s[6:7]
	global_load_b128 v[0:3], v21, s[6:7]
	s_wait_loadcnt 0x0
	v_cmp_neq_f64_e32 vcc_lo, 0, v[0:1]
	v_cmp_neq_f64_e64 s6, 0, v[2:3]
	s_wait_alu 0xfffe
	s_or_b32 s6, vcc_lo, s6
	s_wait_alu 0xfffe
	s_and_not1_b32 vcc_lo, exec_lo, s6
	s_wait_alu 0xfffe
	s_cbranch_vccnz .LBB32_3
; %bb.5:                                ;   in Loop: Header=BB32_4 Depth=1
	s_and_saveexec_b32 s6, s0
	s_cbranch_execz .LBB32_9
; %bb.6:                                ;   in Loop: Header=BB32_4 Depth=1
	v_mov_b32_e32 v4, 0
	v_dual_mov_b32 v5, 0 :: v_dual_mov_b32 v6, 0
	v_mov_b32_e32 v7, 0
	s_and_saveexec_b32 s7, s3
	s_cbranch_execz .LBB32_8
; %bb.7:                                ;   in Loop: Header=BB32_4 Depth=1
	s_mul_u64 s[10:11], s[16:17], s[28:29]
	s_wait_alu 0xfffe
	s_lshl_b64 s[10:11], s[10:11], 4
	s_wait_alu 0xfffe
	v_add_co_u32 v4, vcc_lo, v17, s10
	s_wait_alu 0xfffd
	v_add_co_ci_u32_e64 v5, null, s11, v18, vcc_lo
	global_load_b128 v[4:7], v[4:5], off
.LBB32_8:                               ;   in Loop: Header=BB32_4 Depth=1
	s_wait_alu 0xfffe
	s_or_b32 exec_lo, exec_lo, s7
	s_wait_loadcnt 0x0
	ds_store_b128 v13, v[4:7]
.LBB32_9:                               ;   in Loop: Header=BB32_4 Depth=1
	s_wait_alu 0xfffe
	s_or_b32 exec_lo, exec_lo, s6
	s_and_saveexec_b32 s6, s1
	s_cbranch_execz .LBB32_13
; %bb.10:                               ;   in Loop: Header=BB32_4 Depth=1
	v_mov_b32_e32 v4, 0
	v_dual_mov_b32 v5, 0 :: v_dual_mov_b32 v6, 0
	v_mov_b32_e32 v7, 0
	s_and_saveexec_b32 s7, s4
	s_cbranch_execz .LBB32_12
; %bb.11:                               ;   in Loop: Header=BB32_4 Depth=1
	s_mul_u64 s[10:11], s[8:9], s[28:29]
	s_wait_alu 0xfffe
	s_lshl_b64 s[10:11], s[10:11], 4
	s_wait_alu 0xfffe
	v_add_co_u32 v4, vcc_lo, v19, s10
	s_wait_alu 0xfffd
	v_add_co_ci_u32_e64 v5, null, s11, v20, vcc_lo
	global_load_b128 v[4:7], v[4:5], off
.LBB32_12:                              ;   in Loop: Header=BB32_4 Depth=1
	s_wait_alu 0xfffe
	s_or_b32 exec_lo, exec_lo, s7
	s_wait_loadcnt 0x0
	ds_store_b128 v14, v[4:7]
.LBB32_13:                              ;   in Loop: Header=BB32_4 Depth=1
	s_wait_alu 0xfffe
	s_or_b32 exec_lo, exec_lo, s6
	s_wait_dscnt 0x0
	s_barrier_signal -1
	s_barrier_wait -1
	global_inv scope:SCOPE_SE
	s_and_saveexec_b32 s6, s3
	s_cbranch_execz .LBB32_2
; %bb.14:                               ;   in Loop: Header=BB32_4 Depth=1
	ds_load_b128 v[4:7], v13
	s_mul_u64 s[10:11], s[30:31], s[28:29]
	s_wait_alu 0xfffe
	s_lshl_b64 s[10:11], s[10:11], 4
	s_wait_dscnt 0x0
	v_mul_f64_e32 v[22:23], v[2:3], v[6:7]
	v_mul_f64_e32 v[6:7], v[0:1], v[6:7]
	s_delay_alu instid0(VALU_DEP_2) | instskip(NEXT) | instid1(VALU_DEP_2)
	v_fma_f64 v[0:1], v[0:1], v[4:5], -v[22:23]
	v_fma_f64 v[2:3], v[2:3], v[4:5], v[6:7]
	s_wait_alu 0xfffe
	v_add_co_u32 v4, vcc_lo, v15, s10
	s_wait_alu 0xfffd
	v_add_co_ci_u32_e64 v5, null, s11, v16, vcc_lo
	s_and_saveexec_b32 s7, s2
	s_cbranch_execz .LBB32_16
; %bb.15:                               ;   in Loop: Header=BB32_4 Depth=1
	v_add_co_u32 v6, vcc_lo, v4, v8
	s_wait_alu 0xfffd
	v_add_co_ci_u32_e64 v7, null, v5, v9, vcc_lo
	ds_load_b128 v[26:29], v12
	global_load_b128 v[22:25], v[6:7], off
	s_wait_dscnt 0x0
	v_mul_f64_e32 v[30:31], v[2:3], v[28:29]
	v_mul_f64_e32 v[28:29], v[0:1], v[28:29]
	s_delay_alu instid0(VALU_DEP_2) | instskip(NEXT) | instid1(VALU_DEP_2)
	v_fma_f64 v[30:31], v[0:1], v[26:27], v[30:31]
	v_fma_f64 v[26:27], v[2:3], v[26:27], -v[28:29]
	s_wait_loadcnt 0x0
	s_delay_alu instid0(VALU_DEP_2) | instskip(NEXT) | instid1(VALU_DEP_2)
	v_add_f64_e32 v[22:23], v[22:23], v[30:31]
	v_add_f64_e32 v[24:25], v[26:27], v[24:25]
	global_store_b128 v[6:7], v[22:25], off
.LBB32_16:                              ;   in Loop: Header=BB32_4 Depth=1
	s_wait_alu 0xfffe
	s_or_b32 exec_lo, exec_lo, s7
	s_delay_alu instid0(SALU_CYCLE_1)
	s_and_b32 exec_lo, exec_lo, s5
	s_cbranch_execz .LBB32_2
; %bb.17:                               ;   in Loop: Header=BB32_4 Depth=1
	v_add_co_u32 v26, vcc_lo, v4, v10
	s_wait_alu 0xfffd
	v_add_co_ci_u32_e64 v27, null, v5, v11, vcc_lo
	ds_load_b128 v[22:25], v12 offset:16
	global_load_b128 v[4:7], v[26:27], off
	s_wait_dscnt 0x0
	v_mul_f64_e32 v[28:29], v[2:3], v[24:25]
	v_mul_f64_e32 v[24:25], v[0:1], v[24:25]
	s_delay_alu instid0(VALU_DEP_2) | instskip(NEXT) | instid1(VALU_DEP_2)
	v_fma_f64 v[0:1], v[0:1], v[22:23], v[28:29]
	v_fma_f64 v[2:3], v[2:3], v[22:23], -v[24:25]
	s_wait_loadcnt 0x0
	s_delay_alu instid0(VALU_DEP_2) | instskip(NEXT) | instid1(VALU_DEP_2)
	v_add_f64_e32 v[0:1], v[4:5], v[0:1]
	v_add_f64_e32 v[2:3], v[2:3], v[6:7]
	global_store_b128 v[26:27], v[0:3], off
	s_branch .LBB32_2
.LBB32_18:
	s_endpgm
	.section	.rodata,"a",@progbits
	.p2align	6, 0x0
	.amdhsa_kernel _ZL18rocblas_ger_kernelILi32ELi32ELi2ELb1E19rocblas_complex_numIdEPKS1_S3_PS1_EviiT4_lT5_lllS6_lllT6_lmli
		.amdhsa_group_segment_fixed_size 1536
		.amdhsa_private_segment_fixed_size 0
		.amdhsa_kernarg_size 124
		.amdhsa_user_sgpr_count 2
		.amdhsa_user_sgpr_dispatch_ptr 0
		.amdhsa_user_sgpr_queue_ptr 0
		.amdhsa_user_sgpr_kernarg_segment_ptr 1
		.amdhsa_user_sgpr_dispatch_id 0
		.amdhsa_user_sgpr_private_segment_size 0
		.amdhsa_wavefront_size32 1
		.amdhsa_uses_dynamic_stack 0
		.amdhsa_enable_private_segment 0
		.amdhsa_system_sgpr_workgroup_id_x 1
		.amdhsa_system_sgpr_workgroup_id_y 0
		.amdhsa_system_sgpr_workgroup_id_z 1
		.amdhsa_system_sgpr_workgroup_info 0
		.amdhsa_system_vgpr_workitem_id 1
		.amdhsa_next_free_vgpr 32
		.amdhsa_next_free_sgpr 40
		.amdhsa_reserve_vcc 1
		.amdhsa_float_round_mode_32 0
		.amdhsa_float_round_mode_16_64 0
		.amdhsa_float_denorm_mode_32 3
		.amdhsa_float_denorm_mode_16_64 3
		.amdhsa_fp16_overflow 0
		.amdhsa_workgroup_processor_mode 1
		.amdhsa_memory_ordered 1
		.amdhsa_forward_progress 1
		.amdhsa_inst_pref_size 10
		.amdhsa_round_robin_scheduling 0
		.amdhsa_exception_fp_ieee_invalid_op 0
		.amdhsa_exception_fp_denorm_src 0
		.amdhsa_exception_fp_ieee_div_zero 0
		.amdhsa_exception_fp_ieee_overflow 0
		.amdhsa_exception_fp_ieee_underflow 0
		.amdhsa_exception_fp_ieee_inexact 0
		.amdhsa_exception_int_div_zero 0
	.end_amdhsa_kernel
	.section	.text._ZL18rocblas_ger_kernelILi32ELi32ELi2ELb1E19rocblas_complex_numIdEPKS1_S3_PS1_EviiT4_lT5_lllS6_lllT6_lmli,"axG",@progbits,_ZL18rocblas_ger_kernelILi32ELi32ELi2ELb1E19rocblas_complex_numIdEPKS1_S3_PS1_EviiT4_lT5_lllS6_lllT6_lmli,comdat
.Lfunc_end32:
	.size	_ZL18rocblas_ger_kernelILi32ELi32ELi2ELb1E19rocblas_complex_numIdEPKS1_S3_PS1_EviiT4_lT5_lllS6_lllT6_lmli, .Lfunc_end32-_ZL18rocblas_ger_kernelILi32ELi32ELi2ELb1E19rocblas_complex_numIdEPKS1_S3_PS1_EviiT4_lT5_lllS6_lllT6_lmli
                                        ; -- End function
	.set _ZL18rocblas_ger_kernelILi32ELi32ELi2ELb1E19rocblas_complex_numIdEPKS1_S3_PS1_EviiT4_lT5_lllS6_lllT6_lmli.num_vgpr, 32
	.set _ZL18rocblas_ger_kernelILi32ELi32ELi2ELb1E19rocblas_complex_numIdEPKS1_S3_PS1_EviiT4_lT5_lllS6_lllT6_lmli.num_agpr, 0
	.set _ZL18rocblas_ger_kernelILi32ELi32ELi2ELb1E19rocblas_complex_numIdEPKS1_S3_PS1_EviiT4_lT5_lllS6_lllT6_lmli.numbered_sgpr, 40
	.set _ZL18rocblas_ger_kernelILi32ELi32ELi2ELb1E19rocblas_complex_numIdEPKS1_S3_PS1_EviiT4_lT5_lllS6_lllT6_lmli.num_named_barrier, 0
	.set _ZL18rocblas_ger_kernelILi32ELi32ELi2ELb1E19rocblas_complex_numIdEPKS1_S3_PS1_EviiT4_lT5_lllS6_lllT6_lmli.private_seg_size, 0
	.set _ZL18rocblas_ger_kernelILi32ELi32ELi2ELb1E19rocblas_complex_numIdEPKS1_S3_PS1_EviiT4_lT5_lllS6_lllT6_lmli.uses_vcc, 1
	.set _ZL18rocblas_ger_kernelILi32ELi32ELi2ELb1E19rocblas_complex_numIdEPKS1_S3_PS1_EviiT4_lT5_lllS6_lllT6_lmli.uses_flat_scratch, 0
	.set _ZL18rocblas_ger_kernelILi32ELi32ELi2ELb1E19rocblas_complex_numIdEPKS1_S3_PS1_EviiT4_lT5_lllS6_lllT6_lmli.has_dyn_sized_stack, 0
	.set _ZL18rocblas_ger_kernelILi32ELi32ELi2ELb1E19rocblas_complex_numIdEPKS1_S3_PS1_EviiT4_lT5_lllS6_lllT6_lmli.has_recursion, 0
	.set _ZL18rocblas_ger_kernelILi32ELi32ELi2ELb1E19rocblas_complex_numIdEPKS1_S3_PS1_EviiT4_lT5_lllS6_lllT6_lmli.has_indirect_call, 0
	.section	.AMDGPU.csdata,"",@progbits
; Kernel info:
; codeLenInByte = 1268
; TotalNumSgprs: 42
; NumVgprs: 32
; ScratchSize: 0
; MemoryBound: 1
; FloatMode: 240
; IeeeMode: 1
; LDSByteSize: 1536 bytes/workgroup (compile time only)
; SGPRBlocks: 0
; VGPRBlocks: 3
; NumSGPRsForWavesPerEU: 42
; NumVGPRsForWavesPerEU: 32
; Occupancy: 16
; WaveLimiterHint : 0
; COMPUTE_PGM_RSRC2:SCRATCH_EN: 0
; COMPUTE_PGM_RSRC2:USER_SGPR: 2
; COMPUTE_PGM_RSRC2:TRAP_HANDLER: 0
; COMPUTE_PGM_RSRC2:TGID_X_EN: 1
; COMPUTE_PGM_RSRC2:TGID_Y_EN: 0
; COMPUTE_PGM_RSRC2:TGID_Z_EN: 1
; COMPUTE_PGM_RSRC2:TIDIG_COMP_CNT: 1
	.section	.text._ZL18rocblas_ger_kernelILi32ELi32ELi2ELb1E19rocblas_complex_numIdES1_PKS1_PS1_EviiT4_lT5_lllS6_lllT6_lmli,"axG",@progbits,_ZL18rocblas_ger_kernelILi32ELi32ELi2ELb1E19rocblas_complex_numIdES1_PKS1_PS1_EviiT4_lT5_lllS6_lllT6_lmli,comdat
	.globl	_ZL18rocblas_ger_kernelILi32ELi32ELi2ELb1E19rocblas_complex_numIdES1_PKS1_PS1_EviiT4_lT5_lllS6_lllT6_lmli ; -- Begin function _ZL18rocblas_ger_kernelILi32ELi32ELi2ELb1E19rocblas_complex_numIdES1_PKS1_PS1_EviiT4_lT5_lllS6_lllT6_lmli
	.p2align	8
	.type	_ZL18rocblas_ger_kernelILi32ELi32ELi2ELb1E19rocblas_complex_numIdES1_PKS1_PS1_EviiT4_lT5_lllS6_lllT6_lmli,@function
_ZL18rocblas_ger_kernelILi32ELi32ELi2ELb1E19rocblas_complex_numIdES1_PKS1_PS1_EviiT4_lT5_lllS6_lllT6_lmli: ; @_ZL18rocblas_ger_kernelILi32ELi32ELi2ELb1E19rocblas_complex_numIdES1_PKS1_PS1_EviiT4_lT5_lllS6_lllT6_lmli
; %bb.0:
	s_load_b32 s33, s[0:1], 0x80
	s_lshr_b32 s28, ttmp7, 16
	s_wait_kmcnt 0x0
	s_cmp_ge_u32 s28, s33
	s_cbranch_scc1 .LBB33_18
; %bb.1:
	s_clause 0x3
	s_load_b64 s[34:35], s[0:1], 0x0
	s_load_b128 s[24:27], s[0:1], 0x8
	s_load_b256 s[8:15], s[0:1], 0x58
	s_load_b256 s[16:23], s[0:1], 0x38
	v_and_b32_e32 v2, 0x3ff, v0
	s_wait_kmcnt 0x0
	s_add_co_i32 s2, s34, -1
	v_cmp_neq_f64_e64 s40, s[24:25], 0
	s_ashr_i32 s3, s2, 31
	s_delay_alu instid0(SALU_CYCLE_1) | instskip(NEXT) | instid1(SALU_CYCLE_1)
	s_lshr_b32 s3, s3, 27
	s_add_co_i32 s2, s2, s3
	s_delay_alu instid0(SALU_CYCLE_1) | instskip(NEXT) | instid1(SALU_CYCLE_1)
	s_ashr_i32 s29, s2, 5
	s_add_co_i32 s36, s29, 1
	s_not_b32 s29, s29
	s_cvt_f32_u32 s2, s36
	s_delay_alu instid0(SALU_CYCLE_3) | instskip(NEXT) | instid1(TRANS32_DEP_1)
	v_rcp_iflag_f32_e32 v1, s2
	v_readfirstlane_b32 s2, v1
	v_bfe_u32 v1, v0, 10, 10
	s_mul_f32 s37, s2, 0x4f7ffffe
	s_clause 0x2
	s_load_b64 s[2:3], s[0:1], 0x20
	s_load_b128 s[4:7], s[0:1], 0x28
	s_load_b64 s[30:31], s[0:1], 0x78
	v_lshlrev_b32_e32 v0, 1, v1
	v_cmp_eq_u32_e64 s0, 0, v1
	s_cvt_u32_f32 s1, s37
	v_lshlrev_b32_e32 v8, 5, v1
	s_delay_alu instid0(SALU_CYCLE_2) | instskip(NEXT) | instid1(SALU_CYCLE_1)
	s_mul_i32 s29, s29, s1
	s_mul_hi_u32 s29, s1, s29
	s_delay_alu instid0(SALU_CYCLE_1) | instskip(SKIP_2) | instid1(SALU_CYCLE_1)
	s_add_co_i32 s29, s1, s29
	v_cmp_gt_u32_e64 s1, 2, v2
	s_mul_hi_u32 s29, ttmp9, s29
	s_mul_i32 s37, s29, s36
	s_add_co_i32 s38, s29, 1
	s_sub_co_i32 s37, ttmp9, s37
	s_delay_alu instid0(SALU_CYCLE_1)
	s_sub_co_i32 s39, s37, s36
	s_cmp_ge_u32 s37, s36
	s_cselect_b32 s29, s38, s29
	s_cselect_b32 s37, s39, s37
	s_add_co_i32 s38, s29, 1
	s_cmp_ge_u32 s37, s36
	v_cmp_neq_f64_e64 s37, s[26:27], 0
	s_cselect_b32 s29, s38, s29
	s_lshl_b64 s[12:13], s[12:13], 4
	v_lshl_add_u32 v1, s29, 6, v0
	s_lshl_b64 s[20:21], s[20:21], 4
	s_mul_i32 s29, s29, s36
	s_add_nc_u64 s[10:11], s[10:11], s[12:13]
	s_add_nc_u64 s[12:13], s[18:19], s[20:21]
	v_or_b32_e32 v11, v1, v2
	v_ashrrev_i32_e32 v6, 31, v1
	s_wait_alu 0xfffe
	s_sub_co_i32 s20, ttmp9, s29
	s_wait_kmcnt 0x0
	s_lshl_b64 s[4:5], s[4:5], 4
	v_lshl_add_u32 v0, s20, 5, v2
	v_mad_co_u64_u32 v[13:14], null, s22, v11, 0
	v_lshlrev_b32_e32 v3, 4, v2
	v_mul_lo_u32 v19, s14, v6
	s_add_nc_u64 s[18:19], s[2:3], s[4:5]
	v_cmp_gt_i32_e64 s2, s35, v1
	v_mul_lo_u32 v12, s15, v1
	v_or_b32_e32 v17, 1, v1
	v_mov_b32_e32 v6, v14
	v_add_nc_u32_e32 v10, v8, v3
	v_mul_lo_u32 v18, s7, v0
	v_mad_co_u64_u32 v[4:5], null, s6, v0, 0
	s_delay_alu instid0(VALU_DEP_4)
	v_mad_co_u64_u32 v[6:7], null, s23, v11, v[6:7]
	v_add_nc_u32_e32 v9, 0x400, v3
	v_mad_co_u64_u32 v[2:3], null, s14, v1, 0
	v_ashrrev_i32_e32 v1, 31, v0
	v_mul_lo_u32 v14, s15, v17
	v_mad_co_u64_u32 v[15:16], null, s14, v17, 0
	v_cmp_gt_i32_e64 s3, s34, v0
	s_delay_alu instid0(VALU_DEP_4)
	v_mul_lo_u32 v20, s6, v1
	v_lshlrev_b64_e32 v[0:1], 4, v[0:1]
	v_cmp_gt_u32_e64 s4, s35, v11
	v_cmp_gt_i32_e64 s5, s35, v17
	v_add3_u32 v3, v3, v19, v12
	v_add3_u32 v16, v16, v19, v14
	v_mov_b32_e32 v14, v6
	v_add_co_u32 v11, vcc_lo, s10, v0
	v_add3_u32 v5, v5, v20, v18
	v_add_co_ci_u32_e64 v12, null, s11, v1, vcc_lo
	s_delay_alu instid0(VALU_DEP_4) | instskip(SKIP_1) | instid1(VALU_DEP_4)
	v_lshlrev_b64_e32 v[0:1], 4, v[13:14]
	v_lshlrev_b64_e32 v[6:7], 4, v[15:16]
	;; [unrolled: 1-line block ×4, first 2 shown]
	s_or_b32 s6, s40, s37
	s_mov_b32 s29, 0
	s_delay_alu instid0(VALU_DEP_2)
	v_add_co_u32 v13, vcc_lo, s18, v17
	s_wait_alu 0xfffd
	v_add_co_ci_u32_e64 v14, null, s19, v18, vcc_lo
	v_add_co_u32 v15, vcc_lo, s12, v0
	s_wait_alu 0xfffd
	v_add_co_ci_u32_e64 v16, null, s13, v1, vcc_lo
	s_branch .LBB33_4
.LBB33_2:                               ;   in Loop: Header=BB33_4 Depth=1
	s_wait_alu 0xfffe
	s_or_b32 exec_lo, exec_lo, s7
.LBB33_3:                               ;   in Loop: Header=BB33_4 Depth=1
	s_add_co_i32 s28, s28, 0x10000
	s_wait_alu 0xfffe
	s_cmp_lt_u32 s28, s33
	s_cbranch_scc0 .LBB33_18
.LBB33_4:                               ; =>This Inner Loop Header: Depth=1
	s_wait_alu 0xfffe
	s_and_not1_b32 vcc_lo, exec_lo, s6
	s_wait_alu 0xfffe
	s_cbranch_vccnz .LBB33_3
; %bb.5:                                ;   in Loop: Header=BB33_4 Depth=1
	s_and_saveexec_b32 s7, s0
	s_cbranch_execz .LBB33_9
; %bb.6:                                ;   in Loop: Header=BB33_4 Depth=1
	v_mov_b32_e32 v0, 0
	v_dual_mov_b32 v1, 0 :: v_dual_mov_b32 v2, 0
	v_mov_b32_e32 v3, 0
	s_and_saveexec_b32 s10, s3
	s_cbranch_execz .LBB33_8
; %bb.7:                                ;   in Loop: Header=BB33_4 Depth=1
	s_mul_u64 s[12:13], s[16:17], s[28:29]
	s_wait_alu 0xfffe
	s_lshl_b64 s[12:13], s[12:13], 4
	s_wait_alu 0xfffe
	v_add_co_u32 v0, vcc_lo, v13, s12
	s_wait_alu 0xfffd
	v_add_co_ci_u32_e64 v1, null, s13, v14, vcc_lo
	global_load_b128 v[0:3], v[0:1], off
.LBB33_8:                               ;   in Loop: Header=BB33_4 Depth=1
	s_wait_alu 0xfffe
	s_or_b32 exec_lo, exec_lo, s10
	s_wait_loadcnt 0x0
	ds_store_b128 v9, v[0:3]
.LBB33_9:                               ;   in Loop: Header=BB33_4 Depth=1
	s_wait_alu 0xfffe
	s_or_b32 exec_lo, exec_lo, s7
	s_and_saveexec_b32 s7, s1
	s_cbranch_execz .LBB33_13
; %bb.10:                               ;   in Loop: Header=BB33_4 Depth=1
	v_mov_b32_e32 v0, 0
	v_dual_mov_b32 v1, 0 :: v_dual_mov_b32 v2, 0
	v_mov_b32_e32 v3, 0
	s_and_saveexec_b32 s10, s4
	s_cbranch_execz .LBB33_12
; %bb.11:                               ;   in Loop: Header=BB33_4 Depth=1
	s_mul_u64 s[12:13], s[8:9], s[28:29]
	s_wait_alu 0xfffe
	s_lshl_b64 s[12:13], s[12:13], 4
	s_wait_alu 0xfffe
	v_add_co_u32 v0, vcc_lo, v15, s12
	s_wait_alu 0xfffd
	v_add_co_ci_u32_e64 v1, null, s13, v16, vcc_lo
	global_load_b128 v[0:3], v[0:1], off
.LBB33_12:                              ;   in Loop: Header=BB33_4 Depth=1
	s_wait_alu 0xfffe
	s_or_b32 exec_lo, exec_lo, s10
	s_wait_loadcnt 0x0
	ds_store_b128 v10, v[0:3]
.LBB33_13:                              ;   in Loop: Header=BB33_4 Depth=1
	s_wait_alu 0xfffe
	s_or_b32 exec_lo, exec_lo, s7
	s_wait_dscnt 0x0
	s_barrier_signal -1
	s_barrier_wait -1
	global_inv scope:SCOPE_SE
	s_and_saveexec_b32 s7, s3
	s_cbranch_execz .LBB33_2
; %bb.14:                               ;   in Loop: Header=BB33_4 Depth=1
	ds_load_b128 v[17:20], v9
	s_mul_u64 s[10:11], s[30:31], s[28:29]
	s_wait_alu 0xfffe
	s_lshl_b64 s[10:11], s[10:11], 4
	s_wait_dscnt 0x0
	v_mul_f64_e32 v[0:1], s[26:27], v[19:20]
	v_mul_f64_e32 v[2:3], s[24:25], v[19:20]
	s_delay_alu instid0(VALU_DEP_2) | instskip(NEXT) | instid1(VALU_DEP_2)
	v_fma_f64 v[0:1], s[24:25], v[17:18], -v[0:1]
	v_fma_f64 v[2:3], s[26:27], v[17:18], v[2:3]
	s_wait_alu 0xfffe
	v_add_co_u32 v17, vcc_lo, v11, s10
	s_wait_alu 0xfffd
	v_add_co_ci_u32_e64 v18, null, s11, v12, vcc_lo
	s_and_saveexec_b32 s10, s2
	s_cbranch_execz .LBB33_16
; %bb.15:                               ;   in Loop: Header=BB33_4 Depth=1
	v_add_co_u32 v27, vcc_lo, v17, v4
	s_wait_alu 0xfffd
	v_add_co_ci_u32_e64 v28, null, v18, v5, vcc_lo
	ds_load_b128 v[23:26], v8
	global_load_b128 v[19:22], v[27:28], off
	s_wait_dscnt 0x0
	v_mul_f64_e32 v[29:30], v[2:3], v[25:26]
	v_mul_f64_e32 v[25:26], v[0:1], v[25:26]
	s_delay_alu instid0(VALU_DEP_2) | instskip(NEXT) | instid1(VALU_DEP_2)
	v_fma_f64 v[29:30], v[0:1], v[23:24], v[29:30]
	v_fma_f64 v[23:24], v[2:3], v[23:24], -v[25:26]
	s_wait_loadcnt 0x0
	s_delay_alu instid0(VALU_DEP_2) | instskip(NEXT) | instid1(VALU_DEP_2)
	v_add_f64_e32 v[19:20], v[19:20], v[29:30]
	v_add_f64_e32 v[21:22], v[23:24], v[21:22]
	global_store_b128 v[27:28], v[19:22], off
.LBB33_16:                              ;   in Loop: Header=BB33_4 Depth=1
	s_wait_alu 0xfffe
	s_or_b32 exec_lo, exec_lo, s10
	s_delay_alu instid0(SALU_CYCLE_1)
	s_and_b32 exec_lo, exec_lo, s5
	s_cbranch_execz .LBB33_2
; %bb.17:                               ;   in Loop: Header=BB33_4 Depth=1
	v_add_co_u32 v25, vcc_lo, v17, v6
	s_wait_alu 0xfffd
	v_add_co_ci_u32_e64 v26, null, v18, v7, vcc_lo
	ds_load_b128 v[21:24], v8 offset:16
	global_load_b128 v[17:20], v[25:26], off
	s_wait_dscnt 0x0
	v_mul_f64_e32 v[27:28], v[2:3], v[23:24]
	v_mul_f64_e32 v[23:24], v[0:1], v[23:24]
	s_delay_alu instid0(VALU_DEP_2) | instskip(NEXT) | instid1(VALU_DEP_2)
	v_fma_f64 v[0:1], v[0:1], v[21:22], v[27:28]
	v_fma_f64 v[2:3], v[2:3], v[21:22], -v[23:24]
	s_wait_loadcnt 0x0
	s_delay_alu instid0(VALU_DEP_2) | instskip(NEXT) | instid1(VALU_DEP_2)
	v_add_f64_e32 v[0:1], v[17:18], v[0:1]
	v_add_f64_e32 v[2:3], v[2:3], v[19:20]
	global_store_b128 v[25:26], v[0:3], off
	s_branch .LBB33_2
.LBB33_18:
	s_endpgm
	.section	.rodata,"a",@progbits
	.p2align	6, 0x0
	.amdhsa_kernel _ZL18rocblas_ger_kernelILi32ELi32ELi2ELb1E19rocblas_complex_numIdES1_PKS1_PS1_EviiT4_lT5_lllS6_lllT6_lmli
		.amdhsa_group_segment_fixed_size 1536
		.amdhsa_private_segment_fixed_size 0
		.amdhsa_kernarg_size 132
		.amdhsa_user_sgpr_count 2
		.amdhsa_user_sgpr_dispatch_ptr 0
		.amdhsa_user_sgpr_queue_ptr 0
		.amdhsa_user_sgpr_kernarg_segment_ptr 1
		.amdhsa_user_sgpr_dispatch_id 0
		.amdhsa_user_sgpr_private_segment_size 0
		.amdhsa_wavefront_size32 1
		.amdhsa_uses_dynamic_stack 0
		.amdhsa_enable_private_segment 0
		.amdhsa_system_sgpr_workgroup_id_x 1
		.amdhsa_system_sgpr_workgroup_id_y 0
		.amdhsa_system_sgpr_workgroup_id_z 1
		.amdhsa_system_sgpr_workgroup_info 0
		.amdhsa_system_vgpr_workitem_id 1
		.amdhsa_next_free_vgpr 31
		.amdhsa_next_free_sgpr 41
		.amdhsa_reserve_vcc 1
		.amdhsa_float_round_mode_32 0
		.amdhsa_float_round_mode_16_64 0
		.amdhsa_float_denorm_mode_32 3
		.amdhsa_float_denorm_mode_16_64 3
		.amdhsa_fp16_overflow 0
		.amdhsa_workgroup_processor_mode 1
		.amdhsa_memory_ordered 1
		.amdhsa_forward_progress 1
		.amdhsa_inst_pref_size 10
		.amdhsa_round_robin_scheduling 0
		.amdhsa_exception_fp_ieee_invalid_op 0
		.amdhsa_exception_fp_denorm_src 0
		.amdhsa_exception_fp_ieee_div_zero 0
		.amdhsa_exception_fp_ieee_overflow 0
		.amdhsa_exception_fp_ieee_underflow 0
		.amdhsa_exception_fp_ieee_inexact 0
		.amdhsa_exception_int_div_zero 0
	.end_amdhsa_kernel
	.section	.text._ZL18rocblas_ger_kernelILi32ELi32ELi2ELb1E19rocblas_complex_numIdES1_PKS1_PS1_EviiT4_lT5_lllS6_lllT6_lmli,"axG",@progbits,_ZL18rocblas_ger_kernelILi32ELi32ELi2ELb1E19rocblas_complex_numIdES1_PKS1_PS1_EviiT4_lT5_lllS6_lllT6_lmli,comdat
.Lfunc_end33:
	.size	_ZL18rocblas_ger_kernelILi32ELi32ELi2ELb1E19rocblas_complex_numIdES1_PKS1_PS1_EviiT4_lT5_lllS6_lllT6_lmli, .Lfunc_end33-_ZL18rocblas_ger_kernelILi32ELi32ELi2ELb1E19rocblas_complex_numIdES1_PKS1_PS1_EviiT4_lT5_lllS6_lllT6_lmli
                                        ; -- End function
	.set _ZL18rocblas_ger_kernelILi32ELi32ELi2ELb1E19rocblas_complex_numIdES1_PKS1_PS1_EviiT4_lT5_lllS6_lllT6_lmli.num_vgpr, 31
	.set _ZL18rocblas_ger_kernelILi32ELi32ELi2ELb1E19rocblas_complex_numIdES1_PKS1_PS1_EviiT4_lT5_lllS6_lllT6_lmli.num_agpr, 0
	.set _ZL18rocblas_ger_kernelILi32ELi32ELi2ELb1E19rocblas_complex_numIdES1_PKS1_PS1_EviiT4_lT5_lllS6_lllT6_lmli.numbered_sgpr, 41
	.set _ZL18rocblas_ger_kernelILi32ELi32ELi2ELb1E19rocblas_complex_numIdES1_PKS1_PS1_EviiT4_lT5_lllS6_lllT6_lmli.num_named_barrier, 0
	.set _ZL18rocblas_ger_kernelILi32ELi32ELi2ELb1E19rocblas_complex_numIdES1_PKS1_PS1_EviiT4_lT5_lllS6_lllT6_lmli.private_seg_size, 0
	.set _ZL18rocblas_ger_kernelILi32ELi32ELi2ELb1E19rocblas_complex_numIdES1_PKS1_PS1_EviiT4_lT5_lllS6_lllT6_lmli.uses_vcc, 1
	.set _ZL18rocblas_ger_kernelILi32ELi32ELi2ELb1E19rocblas_complex_numIdES1_PKS1_PS1_EviiT4_lT5_lllS6_lllT6_lmli.uses_flat_scratch, 0
	.set _ZL18rocblas_ger_kernelILi32ELi32ELi2ELb1E19rocblas_complex_numIdES1_PKS1_PS1_EviiT4_lT5_lllS6_lllT6_lmli.has_dyn_sized_stack, 0
	.set _ZL18rocblas_ger_kernelILi32ELi32ELi2ELb1E19rocblas_complex_numIdES1_PKS1_PS1_EviiT4_lT5_lllS6_lllT6_lmli.has_recursion, 0
	.set _ZL18rocblas_ger_kernelILi32ELi32ELi2ELb1E19rocblas_complex_numIdES1_PKS1_PS1_EviiT4_lT5_lllS6_lllT6_lmli.has_indirect_call, 0
	.section	.AMDGPU.csdata,"",@progbits
; Kernel info:
; codeLenInByte = 1220
; TotalNumSgprs: 43
; NumVgprs: 31
; ScratchSize: 0
; MemoryBound: 1
; FloatMode: 240
; IeeeMode: 1
; LDSByteSize: 1536 bytes/workgroup (compile time only)
; SGPRBlocks: 0
; VGPRBlocks: 3
; NumSGPRsForWavesPerEU: 43
; NumVGPRsForWavesPerEU: 31
; Occupancy: 16
; WaveLimiterHint : 1
; COMPUTE_PGM_RSRC2:SCRATCH_EN: 0
; COMPUTE_PGM_RSRC2:USER_SGPR: 2
; COMPUTE_PGM_RSRC2:TRAP_HANDLER: 0
; COMPUTE_PGM_RSRC2:TGID_X_EN: 1
; COMPUTE_PGM_RSRC2:TGID_Y_EN: 0
; COMPUTE_PGM_RSRC2:TGID_Z_EN: 1
; COMPUTE_PGM_RSRC2:TIDIG_COMP_CNT: 1
	.section	.text._ZL34rocblas_ger_double_buffered_kernelILb0ELi128ELi8ELi8Ef24rocblas_internal_val_ptrIfEPKPKfPKPfEvbiiT4_lT5_lllSA_lllT6_lmli,"axG",@progbits,_ZL34rocblas_ger_double_buffered_kernelILb0ELi128ELi8ELi8Ef24rocblas_internal_val_ptrIfEPKPKfPKPfEvbiiT4_lT5_lllSA_lllT6_lmli,comdat
	.globl	_ZL34rocblas_ger_double_buffered_kernelILb0ELi128ELi8ELi8Ef24rocblas_internal_val_ptrIfEPKPKfPKPfEvbiiT4_lT5_lllSA_lllT6_lmli ; -- Begin function _ZL34rocblas_ger_double_buffered_kernelILb0ELi128ELi8ELi8Ef24rocblas_internal_val_ptrIfEPKPKfPKPfEvbiiT4_lT5_lllSA_lllT6_lmli
	.p2align	8
	.type	_ZL34rocblas_ger_double_buffered_kernelILb0ELi128ELi8ELi8Ef24rocblas_internal_val_ptrIfEPKPKfPKPfEvbiiT4_lT5_lllSA_lllT6_lmli,@function
_ZL34rocblas_ger_double_buffered_kernelILb0ELi128ELi8ELi8Ef24rocblas_internal_val_ptrIfEPKPKfPKPfEvbiiT4_lT5_lllSA_lllT6_lmli: ; @_ZL34rocblas_ger_double_buffered_kernelILb0ELi128ELi8ELi8Ef24rocblas_internal_val_ptrIfEPKPKfPKPfEvbiiT4_lT5_lllSA_lllT6_lmli
; %bb.0:
	s_load_b32 s33, s[0:1], 0x80
	s_lshr_b32 s2, ttmp7, 16
	s_wait_kmcnt 0x0
	s_cmp_ge_u32 s2, s33
	s_cbranch_scc1 .LBB34_7
; %bb.1:
	v_lshrrev_b32_e32 v1, 3, v0
	s_load_b128 s[12:15], s[0:1], 0x28
	v_and_b32_e32 v2, 0x3ff, v0
	s_clause 0x2
	s_load_b128 s[16:19], s[0:1], 0x68
	s_load_b64 s[20:21], s[0:1], 0x60
	s_load_b64 s[22:23], s[0:1], 0x20
	v_and_b32_e32 v23, 63, v0
	v_dual_mov_b32 v22, 0 :: v_dual_and_b32 v1, 0x1ff80, v1
	s_clause 0x3
	s_load_b64 s[24:25], s[0:1], 0x40
	s_load_b128 s[8:11], s[0:1], 0x48
	s_load_b32 s26, s[0:1], 0x0
	s_load_b128 s[4:7], s[0:1], 0x10
	v_add_nc_u32_e32 v1, v1, v2
	v_or_b32_e32 v8, 64, v23
	s_mov_b32 s3, 0
	s_delay_alu instid0(SALU_CYCLE_1) | instskip(NEXT) | instid1(VALU_DEP_2)
	s_mov_b32 s29, s3
	v_lshrrev_b32_e32 v19, 3, v1
	s_delay_alu instid0(VALU_DEP_1) | instskip(SKIP_3) | instid1(VALU_DEP_3)
	v_and_b32_e32 v20, 0x7ff8, v19
	s_wait_kmcnt 0x0
	v_mad_co_u64_u32 v[0:1], null, s14, v23, 0
	v_mad_co_u64_u32 v[2:3], null, s14, v8, 0
	v_mad_co_u64_u32 v[4:5], null, s18, v20, 0
	v_or_b32_e32 v32, 7, v19
	s_bitcmp1_b32 s26, 0
	s_mul_u64 s[36:37], s[18:19], 3
	s_cselect_b32 s46, -1, 0
	s_delay_alu instid0(VALU_DEP_3) | instskip(NEXT) | instid1(VALU_DEP_3)
	v_mad_co_u64_u32 v[6:7], null, s15, v23, v[1:2]
	v_mad_co_u64_u32 v[7:8], null, s15, v8, v[3:4]
	v_mad_co_u64_u32 v[26:27], null, s10, v32, 0
	s_and_b32 s27, ttmp7, 0xffff
	s_lshl_b32 s26, ttmp9, 7
	v_mov_b32_e32 v1, v6
	s_lshl_b32 s28, s27, 7
	v_mov_b32_e32 v3, v7
	v_mad_co_u64_u32 v[8:9], null, s19, v20, v[5:6]
	v_or_b32_e32 v16, 1, v20
	v_or_b32_e32 v17, 2, v20
	v_mad_co_u64_u32 v[6:7], null, s10, v20, 0
	v_or_b32_e32 v21, 3, v20
	v_or_b32_e32 v31, 6, v20
	v_mov_b32_e32 v5, v8
	v_mad_co_u64_u32 v[8:9], null, s10, v16, 0
	v_mad_co_u64_u32 v[10:11], null, s10, v17, 0
	;; [unrolled: 1-line block ×4, first 2 shown]
	s_delay_alu instid0(VALU_DEP_4) | instskip(NEXT) | instid1(VALU_DEP_4)
	v_mad_co_u64_u32 v[14:15], null, s11, v20, v[7:8]
	v_mov_b32_e32 v7, v11
	v_or_b32_e32 v11, 4, v20
	v_mad_co_u64_u32 v[15:16], null, s11, v16, v[9:10]
	s_mul_u64 s[42:43], s[10:11], s[28:29]
	v_mad_co_u64_u32 v[16:17], null, s11, v17, v[7:8]
	v_mov_b32_e32 v7, v13
	v_or_b32_e32 v13, 5, v20
	v_mad_co_u64_u32 v[17:18], null, s10, v11, 0
	s_lshl_b64 s[0:1], s[18:19], 1
	v_mad_co_u64_u32 v[28:29], null, s11, v21, v[7:8]
	v_mad_co_u64_u32 v[19:20], null, s10, v13, 0
	s_xor_b32 s10, s46, -1
	v_mov_b32_e32 v9, v18
	s_ashr_i32 s27, s26, 31
	v_lshlrev_b64_e32 v[0:1], 2, v[0:1]
	v_lshlrev_b64_e32 v[2:3], 2, v[2:3]
	;; [unrolled: 1-line block ×3, first 2 shown]
	v_mov_b32_e32 v7, v20
	v_mad_co_u64_u32 v[20:21], null, s11, v11, v[9:10]
	v_mov_b32_e32 v9, v25
	v_mov_b32_e32 v11, v27
	s_delay_alu instid0(VALU_DEP_4) | instskip(SKIP_1) | instid1(VALU_DEP_4)
	v_mad_co_u64_u32 v[29:30], null, s11, v13, v[7:8]
	v_mov_b32_e32 v7, v14
	v_mad_co_u64_u32 v[30:31], null, s11, v31, v[9:10]
	s_delay_alu instid0(VALU_DEP_4)
	v_mad_co_u64_u32 v[31:32], null, s11, v32, v[11:12]
	v_mov_b32_e32 v9, v15
	v_mov_b32_e32 v11, v16
	v_dual_mov_b32 v13, v28 :: v_dual_mov_b32 v18, v20
	v_dual_mov_b32 v20, v29 :: v_dual_mov_b32 v25, v30
	v_mov_b32_e32 v27, v31
	s_wait_alu 0xfffe
	v_cndmask_b32_e64 v28, 0, 1, s10
	v_lshlrev_b64_e32 v[6:7], 2, v[6:7]
	v_lshlrev_b64_e32 v[8:9], 2, v[8:9]
	;; [unrolled: 1-line block ×8, first 2 shown]
	s_mul_u64 s[30:31], s[18:19], s[28:29]
	v_lshlrev_b32_e32 v23, 2, v23
	s_lshl_b64 s[28:29], s[0:1], 2
	v_cmp_ne_u32_e64 s0, 1, v28
	s_mul_u64 s[34:35], s[14:15], s[26:27]
	s_lshl_b64 s[14:15], s[18:19], 2
	s_mul_u64 s[38:39], s[18:19], 5
	s_mul_u64 s[40:41], s[18:19], 6
	;; [unrolled: 1-line block ×3, first 2 shown]
	s_lshl_b64 s[10:11], s[16:17], 2
	s_lshl_b64 s[12:13], s[12:13], 2
	;; [unrolled: 1-line block ×6, first 2 shown]
	s_wait_alu 0xfffe
	s_lshl_b64 s[34:35], s[14:15], 2
	s_lshl_b64 s[36:37], s[38:39], 2
	;; [unrolled: 1-line block ×6, first 2 shown]
	s_branch .LBB34_3
.LBB34_2:                               ;   in Loop: Header=BB34_3 Depth=1
	s_add_co_i32 s2, s2, 0x10000
	s_delay_alu instid0(SALU_CYCLE_1)
	s_cmp_lt_u32 s2, s33
	s_cbranch_scc0 .LBB34_7
.LBB34_3:                               ; =>This Inner Loop Header: Depth=1
	v_mov_b32_e32 v24, s4
	s_and_b32 vcc_lo, exec_lo, s0
	s_wait_alu 0xfffe
	s_cbranch_vccnz .LBB34_5
; %bb.4:                                ;   in Loop: Header=BB34_3 Depth=1
	s_mul_u64 s[44:45], s[6:7], s[2:3]
	s_wait_alu 0xfffe
	s_lshl_b64 s[44:45], s[44:45], 2
	s_wait_alu 0xfffe
	s_add_nc_u64 s[44:45], s[4:5], s[44:45]
	global_load_b32 v24, v22, s[44:45]
.LBB34_5:                               ;   in Loop: Header=BB34_3 Depth=1
	s_wait_loadcnt 0x0
	v_cmp_eq_f32_e32 vcc_lo, 0, v24
	s_cbranch_vccnz .LBB34_2
; %bb.6:                                ;   in Loop: Header=BB34_3 Depth=1
	s_lshl_b64 s[44:45], s[2:3], 3
	s_wait_alu 0xfffe
	s_add_nc_u64 s[46:47], s[20:21], s[44:45]
	s_add_nc_u64 s[48:49], s[22:23], s[44:45]
	s_load_b64 s[46:47], s[46:47], 0x0
	s_load_b64 s[48:49], s[48:49], 0x0
	s_add_nc_u64 s[44:45], s[24:25], s[44:45]
	s_load_b64 s[44:45], s[44:45], 0x0
	s_wait_kmcnt 0x0
	s_add_nc_u64 s[46:47], s[46:47], s[10:11]
	s_add_nc_u64 s[48:49], s[48:49], s[12:13]
	s_wait_alu 0xfffe
	s_add_nc_u64 s[46:47], s[46:47], s[16:17]
	s_add_nc_u64 s[48:49], s[48:49], s[26:27]
	s_wait_alu 0xfffe
	;; [unrolled: 3-line block ×3, first 2 shown]
	v_add_co_u32 v27, vcc_lo, s46, v4
	s_wait_alu 0xfffd
	v_add_co_ci_u32_e64 v28, null, s47, v5, vcc_lo
	v_add_co_u32 v25, vcc_lo, s48, v0
	s_wait_alu 0xfffd
	v_add_co_ci_u32_e64 v26, null, s49, v1, vcc_lo
	;; [unrolled: 3-line block ×7, first 2 shown]
	s_clause 0x1
	flat_load_b32 v57, v[25:26]
	flat_load_b32 v58, v[29:30]
	s_clause 0x3
	flat_load_b32 v59, v[27:28]
	flat_load_b32 v60, v[31:32]
	;; [unrolled: 1-line block ×4, first 2 shown]
	v_add_co_u32 v25, vcc_lo, v27, s34
	s_wait_alu 0xfffd
	v_add_co_ci_u32_e64 v26, null, s35, v28, vcc_lo
	v_add_co_u32 v29, vcc_lo, v27, s36
	s_wait_alu 0xfffd
	v_add_co_ci_u32_e64 v30, null, s37, v28, vcc_lo
	;; [unrolled: 3-line block ×3, first 2 shown]
	v_add_co_u32 v39, vcc_lo, v27, s40
	s_add_nc_u64 s[44:45], s[44:45], s[42:43]
	s_wait_alu 0xfffd
	v_add_co_ci_u32_e64 v40, null, s41, v28, vcc_lo
	s_wait_alu 0xfffe
	v_add_co_u32 v41, vcc_lo, s44, v6
	s_wait_alu 0xfffd
	v_add_co_ci_u32_e64 v42, null, s45, v7, vcc_lo
	v_add_co_u32 v43, vcc_lo, s44, v8
	s_wait_alu 0xfffd
	v_add_co_ci_u32_e64 v44, null, s45, v9, vcc_lo
	;; [unrolled: 3-line block ×8, first 2 shown]
	s_clause 0x3
	flat_load_b32 v63, v[25:26]
	flat_load_b32 v64, v[29:30]
	flat_load_b32 v65, v[37:38]
	flat_load_b32 v66, v[39:40]
	s_clause 0x7
	flat_load_b32 v41, v[41:42]
	flat_load_b32 v42, v[43:44]
	;; [unrolled: 1-line block ×8, first 2 shown]
	s_clause 0x7
	flat_load_b32 v49, v[35:36] offset:256
	flat_load_b32 v50, v[33:34] offset:256
	;; [unrolled: 1-line block ×8, first 2 shown]
	s_wait_loadcnt_dscnt 0x1919
	v_mul_f32_e32 v57, v24, v57
	s_wait_loadcnt_dscnt 0xf0f
	s_delay_alu instid0(VALU_DEP_1)
	v_dual_mul_f32 v24, v24, v58 :: v_dual_fmac_f32 v59, v57, v41
	s_wait_loadcnt_dscnt 0xe0e
	v_fmac_f32_e32 v60, v57, v42
	s_wait_loadcnt_dscnt 0xd0d
	v_fmac_f32_e32 v61, v57, v43
	;; [unrolled: 2-line block ×3, first 2 shown]
	flat_store_b32 v[27:28], v59
	s_wait_loadcnt_dscnt 0x708
	v_fmac_f32_e32 v49, v24, v44
	s_wait_loadcnt_dscnt 0x607
	v_fmac_f32_e32 v50, v24, v43
	;; [unrolled: 2-line block ×3, first 2 shown]
	v_fmac_f32_e32 v63, v57, v45
	s_wait_loadcnt_dscnt 0x304
	v_dual_fmac_f32 v64, v57, v46 :: v_dual_fmac_f32 v53, v24, v48
	s_wait_loadcnt_dscnt 0x1
	v_dual_fmac_f32 v65, v57, v47 :: v_dual_fmac_f32 v56, v24, v45
	v_dual_fmac_f32 v66, v57, v48 :: v_dual_fmac_f32 v55, v24, v46
	v_fmac_f32_e32 v52, v24, v41
	v_fmac_f32_e32 v54, v24, v47
	s_clause 0xe
	flat_store_b32 v[31:32], v60
	flat_store_b32 v[33:34], v61
	;; [unrolled: 1-line block ×7, first 2 shown]
	flat_store_b32 v[27:28], v52 offset:256
	flat_store_b32 v[31:32], v51 offset:256
	;; [unrolled: 1-line block ×8, first 2 shown]
	s_branch .LBB34_2
.LBB34_7:
	s_endpgm
	.section	.rodata,"a",@progbits
	.p2align	6, 0x0
	.amdhsa_kernel _ZL34rocblas_ger_double_buffered_kernelILb0ELi128ELi8ELi8Ef24rocblas_internal_val_ptrIfEPKPKfPKPfEvbiiT4_lT5_lllSA_lllT6_lmli
		.amdhsa_group_segment_fixed_size 0
		.amdhsa_private_segment_fixed_size 0
		.amdhsa_kernarg_size 132
		.amdhsa_user_sgpr_count 2
		.amdhsa_user_sgpr_dispatch_ptr 0
		.amdhsa_user_sgpr_queue_ptr 0
		.amdhsa_user_sgpr_kernarg_segment_ptr 1
		.amdhsa_user_sgpr_dispatch_id 0
		.amdhsa_user_sgpr_private_segment_size 0
		.amdhsa_wavefront_size32 1
		.amdhsa_uses_dynamic_stack 0
		.amdhsa_enable_private_segment 0
		.amdhsa_system_sgpr_workgroup_id_x 1
		.amdhsa_system_sgpr_workgroup_id_y 1
		.amdhsa_system_sgpr_workgroup_id_z 1
		.amdhsa_system_sgpr_workgroup_info 0
		.amdhsa_system_vgpr_workitem_id 1
		.amdhsa_next_free_vgpr 67
		.amdhsa_next_free_sgpr 50
		.amdhsa_reserve_vcc 1
		.amdhsa_float_round_mode_32 0
		.amdhsa_float_round_mode_16_64 0
		.amdhsa_float_denorm_mode_32 3
		.amdhsa_float_denorm_mode_16_64 3
		.amdhsa_fp16_overflow 0
		.amdhsa_workgroup_processor_mode 1
		.amdhsa_memory_ordered 1
		.amdhsa_forward_progress 1
		.amdhsa_inst_pref_size 15
		.amdhsa_round_robin_scheduling 0
		.amdhsa_exception_fp_ieee_invalid_op 0
		.amdhsa_exception_fp_denorm_src 0
		.amdhsa_exception_fp_ieee_div_zero 0
		.amdhsa_exception_fp_ieee_overflow 0
		.amdhsa_exception_fp_ieee_underflow 0
		.amdhsa_exception_fp_ieee_inexact 0
		.amdhsa_exception_int_div_zero 0
	.end_amdhsa_kernel
	.section	.text._ZL34rocblas_ger_double_buffered_kernelILb0ELi128ELi8ELi8Ef24rocblas_internal_val_ptrIfEPKPKfPKPfEvbiiT4_lT5_lllSA_lllT6_lmli,"axG",@progbits,_ZL34rocblas_ger_double_buffered_kernelILb0ELi128ELi8ELi8Ef24rocblas_internal_val_ptrIfEPKPKfPKPfEvbiiT4_lT5_lllSA_lllT6_lmli,comdat
.Lfunc_end34:
	.size	_ZL34rocblas_ger_double_buffered_kernelILb0ELi128ELi8ELi8Ef24rocblas_internal_val_ptrIfEPKPKfPKPfEvbiiT4_lT5_lllSA_lllT6_lmli, .Lfunc_end34-_ZL34rocblas_ger_double_buffered_kernelILb0ELi128ELi8ELi8Ef24rocblas_internal_val_ptrIfEPKPKfPKPfEvbiiT4_lT5_lllSA_lllT6_lmli
                                        ; -- End function
	.set _ZL34rocblas_ger_double_buffered_kernelILb0ELi128ELi8ELi8Ef24rocblas_internal_val_ptrIfEPKPKfPKPfEvbiiT4_lT5_lllSA_lllT6_lmli.num_vgpr, 67
	.set _ZL34rocblas_ger_double_buffered_kernelILb0ELi128ELi8ELi8Ef24rocblas_internal_val_ptrIfEPKPKfPKPfEvbiiT4_lT5_lllSA_lllT6_lmli.num_agpr, 0
	.set _ZL34rocblas_ger_double_buffered_kernelILb0ELi128ELi8ELi8Ef24rocblas_internal_val_ptrIfEPKPKfPKPfEvbiiT4_lT5_lllSA_lllT6_lmli.numbered_sgpr, 50
	.set _ZL34rocblas_ger_double_buffered_kernelILb0ELi128ELi8ELi8Ef24rocblas_internal_val_ptrIfEPKPKfPKPfEvbiiT4_lT5_lllSA_lllT6_lmli.num_named_barrier, 0
	.set _ZL34rocblas_ger_double_buffered_kernelILb0ELi128ELi8ELi8Ef24rocblas_internal_val_ptrIfEPKPKfPKPfEvbiiT4_lT5_lllSA_lllT6_lmli.private_seg_size, 0
	.set _ZL34rocblas_ger_double_buffered_kernelILb0ELi128ELi8ELi8Ef24rocblas_internal_val_ptrIfEPKPKfPKPfEvbiiT4_lT5_lllSA_lllT6_lmli.uses_vcc, 1
	.set _ZL34rocblas_ger_double_buffered_kernelILb0ELi128ELi8ELi8Ef24rocblas_internal_val_ptrIfEPKPKfPKPfEvbiiT4_lT5_lllSA_lllT6_lmli.uses_flat_scratch, 1
	.set _ZL34rocblas_ger_double_buffered_kernelILb0ELi128ELi8ELi8Ef24rocblas_internal_val_ptrIfEPKPKfPKPfEvbiiT4_lT5_lllSA_lllT6_lmli.has_dyn_sized_stack, 0
	.set _ZL34rocblas_ger_double_buffered_kernelILb0ELi128ELi8ELi8Ef24rocblas_internal_val_ptrIfEPKPKfPKPfEvbiiT4_lT5_lllSA_lllT6_lmli.has_recursion, 0
	.set _ZL34rocblas_ger_double_buffered_kernelILb0ELi128ELi8ELi8Ef24rocblas_internal_val_ptrIfEPKPKfPKPfEvbiiT4_lT5_lllSA_lllT6_lmli.has_indirect_call, 0
	.section	.AMDGPU.csdata,"",@progbits
; Kernel info:
; codeLenInByte = 1852
; TotalNumSgprs: 52
; NumVgprs: 67
; ScratchSize: 0
; MemoryBound: 0
; FloatMode: 240
; IeeeMode: 1
; LDSByteSize: 0 bytes/workgroup (compile time only)
; SGPRBlocks: 0
; VGPRBlocks: 8
; NumSGPRsForWavesPerEU: 52
; NumVGPRsForWavesPerEU: 67
; Occupancy: 16
; WaveLimiterHint : 1
; COMPUTE_PGM_RSRC2:SCRATCH_EN: 0
; COMPUTE_PGM_RSRC2:USER_SGPR: 2
; COMPUTE_PGM_RSRC2:TRAP_HANDLER: 0
; COMPUTE_PGM_RSRC2:TGID_X_EN: 1
; COMPUTE_PGM_RSRC2:TGID_Y_EN: 1
; COMPUTE_PGM_RSRC2:TGID_Z_EN: 1
; COMPUTE_PGM_RSRC2:TIDIG_COMP_CNT: 1
	.section	.text._ZL26rocblas_sger_gfx942_kernelILi256EfPKfPKS1_PKPfEviiT1_lT2_lllS8_lllT3_lll,"axG",@progbits,_ZL26rocblas_sger_gfx942_kernelILi256EfPKfPKS1_PKPfEviiT1_lT2_lllS8_lllT3_lll,comdat
	.globl	_ZL26rocblas_sger_gfx942_kernelILi256EfPKfPKS1_PKPfEviiT1_lT2_lllS8_lllT3_lll ; -- Begin function _ZL26rocblas_sger_gfx942_kernelILi256EfPKfPKS1_PKPfEviiT1_lT2_lllS8_lllT3_lll
	.p2align	8
	.type	_ZL26rocblas_sger_gfx942_kernelILi256EfPKfPKS1_PKPfEviiT1_lT2_lllS8_lllT3_lll,@function
_ZL26rocblas_sger_gfx942_kernelILi256EfPKfPKS1_PKPfEviiT1_lT2_lllS8_lllT3_lll: ; @_ZL26rocblas_sger_gfx942_kernelILi256EfPKfPKS1_PKPfEviiT1_lT2_lllS8_lllT3_lll
; %bb.0:
	s_endpgm
	.section	.rodata,"a",@progbits
	.p2align	6, 0x0
	.amdhsa_kernel _ZL26rocblas_sger_gfx942_kernelILi256EfPKfPKS1_PKPfEviiT1_lT2_lllS8_lllT3_lll
		.amdhsa_group_segment_fixed_size 0
		.amdhsa_private_segment_fixed_size 0
		.amdhsa_kernarg_size 120
		.amdhsa_user_sgpr_count 2
		.amdhsa_user_sgpr_dispatch_ptr 0
		.amdhsa_user_sgpr_queue_ptr 0
		.amdhsa_user_sgpr_kernarg_segment_ptr 1
		.amdhsa_user_sgpr_dispatch_id 0
		.amdhsa_user_sgpr_private_segment_size 0
		.amdhsa_wavefront_size32 1
		.amdhsa_uses_dynamic_stack 0
		.amdhsa_enable_private_segment 0
		.amdhsa_system_sgpr_workgroup_id_x 1
		.amdhsa_system_sgpr_workgroup_id_y 0
		.amdhsa_system_sgpr_workgroup_id_z 0
		.amdhsa_system_sgpr_workgroup_info 0
		.amdhsa_system_vgpr_workitem_id 0
		.amdhsa_next_free_vgpr 1
		.amdhsa_next_free_sgpr 1
		.amdhsa_reserve_vcc 0
		.amdhsa_float_round_mode_32 0
		.amdhsa_float_round_mode_16_64 0
		.amdhsa_float_denorm_mode_32 3
		.amdhsa_float_denorm_mode_16_64 3
		.amdhsa_fp16_overflow 0
		.amdhsa_workgroup_processor_mode 1
		.amdhsa_memory_ordered 1
		.amdhsa_forward_progress 1
		.amdhsa_inst_pref_size 1
		.amdhsa_round_robin_scheduling 0
		.amdhsa_exception_fp_ieee_invalid_op 0
		.amdhsa_exception_fp_denorm_src 0
		.amdhsa_exception_fp_ieee_div_zero 0
		.amdhsa_exception_fp_ieee_overflow 0
		.amdhsa_exception_fp_ieee_underflow 0
		.amdhsa_exception_fp_ieee_inexact 0
		.amdhsa_exception_int_div_zero 0
	.end_amdhsa_kernel
	.section	.text._ZL26rocblas_sger_gfx942_kernelILi256EfPKfPKS1_PKPfEviiT1_lT2_lllS8_lllT3_lll,"axG",@progbits,_ZL26rocblas_sger_gfx942_kernelILi256EfPKfPKS1_PKPfEviiT1_lT2_lllS8_lllT3_lll,comdat
.Lfunc_end35:
	.size	_ZL26rocblas_sger_gfx942_kernelILi256EfPKfPKS1_PKPfEviiT1_lT2_lllS8_lllT3_lll, .Lfunc_end35-_ZL26rocblas_sger_gfx942_kernelILi256EfPKfPKS1_PKPfEviiT1_lT2_lllS8_lllT3_lll
                                        ; -- End function
	.set _ZL26rocblas_sger_gfx942_kernelILi256EfPKfPKS1_PKPfEviiT1_lT2_lllS8_lllT3_lll.num_vgpr, 0
	.set _ZL26rocblas_sger_gfx942_kernelILi256EfPKfPKS1_PKPfEviiT1_lT2_lllS8_lllT3_lll.num_agpr, 0
	.set _ZL26rocblas_sger_gfx942_kernelILi256EfPKfPKS1_PKPfEviiT1_lT2_lllS8_lllT3_lll.numbered_sgpr, 0
	.set _ZL26rocblas_sger_gfx942_kernelILi256EfPKfPKS1_PKPfEviiT1_lT2_lllS8_lllT3_lll.num_named_barrier, 0
	.set _ZL26rocblas_sger_gfx942_kernelILi256EfPKfPKS1_PKPfEviiT1_lT2_lllS8_lllT3_lll.private_seg_size, 0
	.set _ZL26rocblas_sger_gfx942_kernelILi256EfPKfPKS1_PKPfEviiT1_lT2_lllS8_lllT3_lll.uses_vcc, 0
	.set _ZL26rocblas_sger_gfx942_kernelILi256EfPKfPKS1_PKPfEviiT1_lT2_lllS8_lllT3_lll.uses_flat_scratch, 0
	.set _ZL26rocblas_sger_gfx942_kernelILi256EfPKfPKS1_PKPfEviiT1_lT2_lllS8_lllT3_lll.has_dyn_sized_stack, 0
	.set _ZL26rocblas_sger_gfx942_kernelILi256EfPKfPKS1_PKPfEviiT1_lT2_lllS8_lllT3_lll.has_recursion, 0
	.set _ZL26rocblas_sger_gfx942_kernelILi256EfPKfPKS1_PKPfEviiT1_lT2_lllS8_lllT3_lll.has_indirect_call, 0
	.section	.AMDGPU.csdata,"",@progbits
; Kernel info:
; codeLenInByte = 4
; TotalNumSgprs: 0
; NumVgprs: 0
; ScratchSize: 0
; MemoryBound: 0
; FloatMode: 240
; IeeeMode: 1
; LDSByteSize: 0 bytes/workgroup (compile time only)
; SGPRBlocks: 0
; VGPRBlocks: 0
; NumSGPRsForWavesPerEU: 1
; NumVGPRsForWavesPerEU: 1
; Occupancy: 16
; WaveLimiterHint : 0
; COMPUTE_PGM_RSRC2:SCRATCH_EN: 0
; COMPUTE_PGM_RSRC2:USER_SGPR: 2
; COMPUTE_PGM_RSRC2:TRAP_HANDLER: 0
; COMPUTE_PGM_RSRC2:TGID_X_EN: 1
; COMPUTE_PGM_RSRC2:TGID_Y_EN: 0
; COMPUTE_PGM_RSRC2:TGID_Z_EN: 0
; COMPUTE_PGM_RSRC2:TIDIG_COMP_CNT: 0
	.section	.text._ZL26rocblas_sger_gfx942_kernelILi256EffPKPKfPKPfEviiT1_lT2_lllS8_lllT3_lll,"axG",@progbits,_ZL26rocblas_sger_gfx942_kernelILi256EffPKPKfPKPfEviiT1_lT2_lllS8_lllT3_lll,comdat
	.globl	_ZL26rocblas_sger_gfx942_kernelILi256EffPKPKfPKPfEviiT1_lT2_lllS8_lllT3_lll ; -- Begin function _ZL26rocblas_sger_gfx942_kernelILi256EffPKPKfPKPfEviiT1_lT2_lllS8_lllT3_lll
	.p2align	8
	.type	_ZL26rocblas_sger_gfx942_kernelILi256EffPKPKfPKPfEviiT1_lT2_lllS8_lllT3_lll,@function
_ZL26rocblas_sger_gfx942_kernelILi256EffPKPKfPKPfEviiT1_lT2_lllS8_lllT3_lll: ; @_ZL26rocblas_sger_gfx942_kernelILi256EffPKPKfPKPfEviiT1_lT2_lllS8_lllT3_lll
; %bb.0:
	s_endpgm
	.section	.rodata,"a",@progbits
	.p2align	6, 0x0
	.amdhsa_kernel _ZL26rocblas_sger_gfx942_kernelILi256EffPKPKfPKPfEviiT1_lT2_lllS8_lllT3_lll
		.amdhsa_group_segment_fixed_size 0
		.amdhsa_private_segment_fixed_size 0
		.amdhsa_kernarg_size 120
		.amdhsa_user_sgpr_count 2
		.amdhsa_user_sgpr_dispatch_ptr 0
		.amdhsa_user_sgpr_queue_ptr 0
		.amdhsa_user_sgpr_kernarg_segment_ptr 1
		.amdhsa_user_sgpr_dispatch_id 0
		.amdhsa_user_sgpr_private_segment_size 0
		.amdhsa_wavefront_size32 1
		.amdhsa_uses_dynamic_stack 0
		.amdhsa_enable_private_segment 0
		.amdhsa_system_sgpr_workgroup_id_x 1
		.amdhsa_system_sgpr_workgroup_id_y 0
		.amdhsa_system_sgpr_workgroup_id_z 0
		.amdhsa_system_sgpr_workgroup_info 0
		.amdhsa_system_vgpr_workitem_id 0
		.amdhsa_next_free_vgpr 1
		.amdhsa_next_free_sgpr 1
		.amdhsa_reserve_vcc 0
		.amdhsa_float_round_mode_32 0
		.amdhsa_float_round_mode_16_64 0
		.amdhsa_float_denorm_mode_32 3
		.amdhsa_float_denorm_mode_16_64 3
		.amdhsa_fp16_overflow 0
		.amdhsa_workgroup_processor_mode 1
		.amdhsa_memory_ordered 1
		.amdhsa_forward_progress 1
		.amdhsa_inst_pref_size 1
		.amdhsa_round_robin_scheduling 0
		.amdhsa_exception_fp_ieee_invalid_op 0
		.amdhsa_exception_fp_denorm_src 0
		.amdhsa_exception_fp_ieee_div_zero 0
		.amdhsa_exception_fp_ieee_overflow 0
		.amdhsa_exception_fp_ieee_underflow 0
		.amdhsa_exception_fp_ieee_inexact 0
		.amdhsa_exception_int_div_zero 0
	.end_amdhsa_kernel
	.section	.text._ZL26rocblas_sger_gfx942_kernelILi256EffPKPKfPKPfEviiT1_lT2_lllS8_lllT3_lll,"axG",@progbits,_ZL26rocblas_sger_gfx942_kernelILi256EffPKPKfPKPfEviiT1_lT2_lllS8_lllT3_lll,comdat
.Lfunc_end36:
	.size	_ZL26rocblas_sger_gfx942_kernelILi256EffPKPKfPKPfEviiT1_lT2_lllS8_lllT3_lll, .Lfunc_end36-_ZL26rocblas_sger_gfx942_kernelILi256EffPKPKfPKPfEviiT1_lT2_lllS8_lllT3_lll
                                        ; -- End function
	.set _ZL26rocblas_sger_gfx942_kernelILi256EffPKPKfPKPfEviiT1_lT2_lllS8_lllT3_lll.num_vgpr, 0
	.set _ZL26rocblas_sger_gfx942_kernelILi256EffPKPKfPKPfEviiT1_lT2_lllS8_lllT3_lll.num_agpr, 0
	.set _ZL26rocblas_sger_gfx942_kernelILi256EffPKPKfPKPfEviiT1_lT2_lllS8_lllT3_lll.numbered_sgpr, 0
	.set _ZL26rocblas_sger_gfx942_kernelILi256EffPKPKfPKPfEviiT1_lT2_lllS8_lllT3_lll.num_named_barrier, 0
	.set _ZL26rocblas_sger_gfx942_kernelILi256EffPKPKfPKPfEviiT1_lT2_lllS8_lllT3_lll.private_seg_size, 0
	.set _ZL26rocblas_sger_gfx942_kernelILi256EffPKPKfPKPfEviiT1_lT2_lllS8_lllT3_lll.uses_vcc, 0
	.set _ZL26rocblas_sger_gfx942_kernelILi256EffPKPKfPKPfEviiT1_lT2_lllS8_lllT3_lll.uses_flat_scratch, 0
	.set _ZL26rocblas_sger_gfx942_kernelILi256EffPKPKfPKPfEviiT1_lT2_lllS8_lllT3_lll.has_dyn_sized_stack, 0
	.set _ZL26rocblas_sger_gfx942_kernelILi256EffPKPKfPKPfEviiT1_lT2_lllS8_lllT3_lll.has_recursion, 0
	.set _ZL26rocblas_sger_gfx942_kernelILi256EffPKPKfPKPfEviiT1_lT2_lllS8_lllT3_lll.has_indirect_call, 0
	.section	.AMDGPU.csdata,"",@progbits
; Kernel info:
; codeLenInByte = 4
; TotalNumSgprs: 0
; NumVgprs: 0
; ScratchSize: 0
; MemoryBound: 0
; FloatMode: 240
; IeeeMode: 1
; LDSByteSize: 0 bytes/workgroup (compile time only)
; SGPRBlocks: 0
; VGPRBlocks: 0
; NumSGPRsForWavesPerEU: 1
; NumVGPRsForWavesPerEU: 1
; Occupancy: 16
; WaveLimiterHint : 0
; COMPUTE_PGM_RSRC2:SCRATCH_EN: 0
; COMPUTE_PGM_RSRC2:USER_SGPR: 2
; COMPUTE_PGM_RSRC2:TRAP_HANDLER: 0
; COMPUTE_PGM_RSRC2:TGID_X_EN: 1
; COMPUTE_PGM_RSRC2:TGID_Y_EN: 0
; COMPUTE_PGM_RSRC2:TGID_Z_EN: 0
; COMPUTE_PGM_RSRC2:TIDIG_COMP_CNT: 0
	.section	.text._ZL19rocblas_sger_kernelILi1024EfPKfPKS1_PKPfEviiT1_lT2_lllS8_lllT3_lmli,"axG",@progbits,_ZL19rocblas_sger_kernelILi1024EfPKfPKS1_PKPfEviiT1_lT2_lllS8_lllT3_lmli,comdat
	.globl	_ZL19rocblas_sger_kernelILi1024EfPKfPKS1_PKPfEviiT1_lT2_lllS8_lllT3_lmli ; -- Begin function _ZL19rocblas_sger_kernelILi1024EfPKfPKS1_PKPfEviiT1_lT2_lllS8_lllT3_lmli
	.p2align	8
	.type	_ZL19rocblas_sger_kernelILi1024EfPKfPKS1_PKPfEviiT1_lT2_lllS8_lllT3_lmli,@function
_ZL19rocblas_sger_kernelILi1024EfPKfPKS1_PKPfEviiT1_lT2_lllS8_lllT3_lmli: ; @_ZL19rocblas_sger_kernelILi1024EfPKfPKS1_PKPfEviiT1_lT2_lllS8_lllT3_lmli
; %bb.0:
	s_load_b32 s24, s[0:1], 0x78
	s_lshr_b32 s2, ttmp7, 16
	s_wait_kmcnt 0x0
	s_cmp_ge_u32 s2, s24
	s_cbranch_scc1 .LBB37_8
; %bb.1:
	s_clause 0x7
	s_load_b128 s[8:11], s[0:1], 0x20
	s_load_b32 s25, s[0:1], 0x0
	s_load_b128 s[20:23], s[0:1], 0x60
	s_load_b128 s[28:31], s[0:1], 0x40
	s_load_b64 s[12:13], s[0:1], 0x18
	s_load_b64 s[14:15], s[0:1], 0x58
	;; [unrolled: 1-line block ×3, first 2 shown]
	s_load_b128 s[4:7], s[0:1], 0x8
	s_mov_b32 s18, ttmp9
	s_ashr_i32 s19, ttmp9, 31
	s_mov_b32 s3, 0
	s_wait_kmcnt 0x0
	v_cmp_gt_i32_e64 s0, s25, v0
	v_mad_co_u64_u32 v[1:2], null, s10, v0, 0
	s_mul_u64 s[22:23], s[22:23], s[18:19]
	s_mul_u64 s[26:27], s[30:31], s[18:19]
	s_lshl_b64 s[18:19], s[8:9], 2
	s_lshl_b64 s[8:9], s[10:11], 12
	v_mad_co_u64_u32 v[2:3], null, s11, v0, v[2:3]
	v_cndmask_b32_e64 v3, 0, v0, s0
	v_mov_b32_e32 v5, 0
	s_lshl_b64 s[10:11], s[28:29], 2
	s_delay_alu instid0(VALU_DEP_2) | instskip(NEXT) | instid1(VALU_DEP_4)
	v_lshlrev_b32_e32 v8, 2, v3
	v_lshlrev_b64_e32 v[1:2], 2, v[1:2]
	s_delay_alu instid0(VALU_DEP_1) | instskip(NEXT) | instid1(VALU_DEP_1)
	v_add_co_u32 v6, vcc_lo, v1, s18
	v_add_co_ci_u32_e64 v7, null, s19, v2, vcc_lo
	s_lshl_b64 s[18:19], s[20:21], 2
	s_lshl_b64 s[20:21], s[22:23], 2
	;; [unrolled: 1-line block ×3, first 2 shown]
	s_branch .LBB37_4
.LBB37_2:                               ;   in Loop: Header=BB37_4 Depth=1
	s_or_b32 exec_lo, exec_lo, s26
.LBB37_3:                               ;   in Loop: Header=BB37_4 Depth=1
	s_add_co_i32 s2, s2, 0x10000
	s_delay_alu instid0(SALU_CYCLE_1)
	s_cmp_lt_u32 s2, s24
	s_cbranch_scc0 .LBB37_8
.LBB37_4:                               ; =>This Loop Header: Depth=1
                                        ;     Child Loop BB37_7 Depth 2
	s_mul_u64 s[26:27], s[6:7], s[2:3]
	s_delay_alu instid0(SALU_CYCLE_1) | instskip(NEXT) | instid1(SALU_CYCLE_1)
	s_lshl_b64 s[26:27], s[26:27], 2
	s_add_nc_u64 s[26:27], s[4:5], s[26:27]
	global_load_b32 v9, v5, s[26:27]
	s_wait_loadcnt 0x0
	v_cmp_eq_f32_e32 vcc_lo, 0, v9
	s_cbranch_vccnz .LBB37_3
; %bb.5:                                ;   in Loop: Header=BB37_4 Depth=1
	s_and_saveexec_b32 s26, s0
	s_cbranch_execz .LBB37_2
; %bb.6:                                ;   in Loop: Header=BB37_4 Depth=1
	s_lshl_b64 s[28:29], s[2:3], 3
	s_mov_b32 s27, 0
	s_wait_alu 0xfffe
	s_add_nc_u64 s[30:31], s[16:17], s[28:29]
	s_load_b64 s[30:31], s[30:31], 0x0
	s_wait_kmcnt 0x0
	s_add_nc_u64 s[30:31], s[30:31], s[10:11]
	s_wait_alu 0xfffe
	s_add_nc_u64 s[30:31], s[30:31], s[22:23]
	s_wait_alu 0xfffe
	v_dual_mov_b32 v1, s30 :: v_dual_mov_b32 v2, s31
	s_add_nc_u64 s[30:31], s[14:15], s[28:29]
	s_add_nc_u64 s[28:29], s[12:13], s[28:29]
	s_load_b64 s[30:31], s[30:31], 0x0
	s_load_b64 s[28:29], s[28:29], 0x0
	flat_load_b32 v10, v[1:2]
	s_wait_kmcnt 0x0
	s_add_nc_u64 s[30:31], s[30:31], s[18:19]
	v_add_co_u32 v1, vcc_lo, s28, v6
	s_wait_alu 0xfffe
	v_add_co_u32 v3, s1, s30, v8
	s_wait_alu 0xf1ff
	v_add_co_ci_u32_e64 v4, null, s31, 0, s1
	s_wait_alu 0xfffd
	v_add_co_ci_u32_e64 v2, null, s29, v7, vcc_lo
	v_add_co_u32 v3, vcc_lo, v3, s20
	s_wait_alu 0xfffd
	v_add_co_ci_u32_e64 v4, null, s21, v4, vcc_lo
	s_wait_loadcnt_dscnt 0x0
	v_dual_mul_f32 v9, v9, v10 :: v_dual_mov_b32 v10, v0
.LBB37_7:                               ;   Parent Loop BB37_4 Depth=1
                                        ; =>  This Inner Loop Header: Depth=2
	flat_load_b32 v11, v[1:2]
	flat_load_b32 v12, v[3:4]
	v_add_nc_u32_e32 v10, 0x400, v10
	v_add_co_u32 v1, vcc_lo, v1, s8
	s_wait_alu 0xfffd
	v_add_co_ci_u32_e64 v2, null, s9, v2, vcc_lo
	s_delay_alu instid0(VALU_DEP_3)
	v_cmp_le_i32_e32 vcc_lo, s25, v10
	s_or_b32 s27, vcc_lo, s27
	s_wait_loadcnt_dscnt 0x0
	v_fmac_f32_e32 v12, v9, v11
	flat_store_b32 v[3:4], v12
	v_add_co_u32 v3, s1, 0x1000, v3
	s_wait_alu 0xf1ff
	v_add_co_ci_u32_e64 v4, null, 0, v4, s1
	s_and_not1_b32 exec_lo, exec_lo, s27
	s_cbranch_execnz .LBB37_7
	s_branch .LBB37_2
.LBB37_8:
	s_endpgm
	.section	.rodata,"a",@progbits
	.p2align	6, 0x0
	.amdhsa_kernel _ZL19rocblas_sger_kernelILi1024EfPKfPKS1_PKPfEviiT1_lT2_lllS8_lllT3_lmli
		.amdhsa_group_segment_fixed_size 0
		.amdhsa_private_segment_fixed_size 0
		.amdhsa_kernarg_size 124
		.amdhsa_user_sgpr_count 2
		.amdhsa_user_sgpr_dispatch_ptr 0
		.amdhsa_user_sgpr_queue_ptr 0
		.amdhsa_user_sgpr_kernarg_segment_ptr 1
		.amdhsa_user_sgpr_dispatch_id 0
		.amdhsa_user_sgpr_private_segment_size 0
		.amdhsa_wavefront_size32 1
		.amdhsa_uses_dynamic_stack 0
		.amdhsa_enable_private_segment 0
		.amdhsa_system_sgpr_workgroup_id_x 1
		.amdhsa_system_sgpr_workgroup_id_y 0
		.amdhsa_system_sgpr_workgroup_id_z 1
		.amdhsa_system_sgpr_workgroup_info 0
		.amdhsa_system_vgpr_workitem_id 0
		.amdhsa_next_free_vgpr 13
		.amdhsa_next_free_sgpr 32
		.amdhsa_reserve_vcc 1
		.amdhsa_float_round_mode_32 0
		.amdhsa_float_round_mode_16_64 0
		.amdhsa_float_denorm_mode_32 3
		.amdhsa_float_denorm_mode_16_64 3
		.amdhsa_fp16_overflow 0
		.amdhsa_workgroup_processor_mode 1
		.amdhsa_memory_ordered 1
		.amdhsa_forward_progress 1
		.amdhsa_inst_pref_size 5
		.amdhsa_round_robin_scheduling 0
		.amdhsa_exception_fp_ieee_invalid_op 0
		.amdhsa_exception_fp_denorm_src 0
		.amdhsa_exception_fp_ieee_div_zero 0
		.amdhsa_exception_fp_ieee_overflow 0
		.amdhsa_exception_fp_ieee_underflow 0
		.amdhsa_exception_fp_ieee_inexact 0
		.amdhsa_exception_int_div_zero 0
	.end_amdhsa_kernel
	.section	.text._ZL19rocblas_sger_kernelILi1024EfPKfPKS1_PKPfEviiT1_lT2_lllS8_lllT3_lmli,"axG",@progbits,_ZL19rocblas_sger_kernelILi1024EfPKfPKS1_PKPfEviiT1_lT2_lllS8_lllT3_lmli,comdat
.Lfunc_end37:
	.size	_ZL19rocblas_sger_kernelILi1024EfPKfPKS1_PKPfEviiT1_lT2_lllS8_lllT3_lmli, .Lfunc_end37-_ZL19rocblas_sger_kernelILi1024EfPKfPKS1_PKPfEviiT1_lT2_lllS8_lllT3_lmli
                                        ; -- End function
	.set _ZL19rocblas_sger_kernelILi1024EfPKfPKS1_PKPfEviiT1_lT2_lllS8_lllT3_lmli.num_vgpr, 13
	.set _ZL19rocblas_sger_kernelILi1024EfPKfPKS1_PKPfEviiT1_lT2_lllS8_lllT3_lmli.num_agpr, 0
	.set _ZL19rocblas_sger_kernelILi1024EfPKfPKS1_PKPfEviiT1_lT2_lllS8_lllT3_lmli.numbered_sgpr, 32
	.set _ZL19rocblas_sger_kernelILi1024EfPKfPKS1_PKPfEviiT1_lT2_lllS8_lllT3_lmli.num_named_barrier, 0
	.set _ZL19rocblas_sger_kernelILi1024EfPKfPKS1_PKPfEviiT1_lT2_lllS8_lllT3_lmli.private_seg_size, 0
	.set _ZL19rocblas_sger_kernelILi1024EfPKfPKS1_PKPfEviiT1_lT2_lllS8_lllT3_lmli.uses_vcc, 1
	.set _ZL19rocblas_sger_kernelILi1024EfPKfPKS1_PKPfEviiT1_lT2_lllS8_lllT3_lmli.uses_flat_scratch, 0
	.set _ZL19rocblas_sger_kernelILi1024EfPKfPKS1_PKPfEviiT1_lT2_lllS8_lllT3_lmli.has_dyn_sized_stack, 0
	.set _ZL19rocblas_sger_kernelILi1024EfPKfPKS1_PKPfEviiT1_lT2_lllS8_lllT3_lmli.has_recursion, 0
	.set _ZL19rocblas_sger_kernelILi1024EfPKfPKS1_PKPfEviiT1_lT2_lllS8_lllT3_lmli.has_indirect_call, 0
	.section	.AMDGPU.csdata,"",@progbits
; Kernel info:
; codeLenInByte = 580
; TotalNumSgprs: 34
; NumVgprs: 13
; ScratchSize: 0
; MemoryBound: 0
; FloatMode: 240
; IeeeMode: 1
; LDSByteSize: 0 bytes/workgroup (compile time only)
; SGPRBlocks: 0
; VGPRBlocks: 1
; NumSGPRsForWavesPerEU: 34
; NumVGPRsForWavesPerEU: 13
; Occupancy: 16
; WaveLimiterHint : 1
; COMPUTE_PGM_RSRC2:SCRATCH_EN: 0
; COMPUTE_PGM_RSRC2:USER_SGPR: 2
; COMPUTE_PGM_RSRC2:TRAP_HANDLER: 0
; COMPUTE_PGM_RSRC2:TGID_X_EN: 1
; COMPUTE_PGM_RSRC2:TGID_Y_EN: 0
; COMPUTE_PGM_RSRC2:TGID_Z_EN: 1
; COMPUTE_PGM_RSRC2:TIDIG_COMP_CNT: 0
	.section	.text._ZL19rocblas_sger_kernelILi1024EffPKPKfPKPfEviiT1_lT2_lllS8_lllT3_lmli,"axG",@progbits,_ZL19rocblas_sger_kernelILi1024EffPKPKfPKPfEviiT1_lT2_lllS8_lllT3_lmli,comdat
	.globl	_ZL19rocblas_sger_kernelILi1024EffPKPKfPKPfEviiT1_lT2_lllS8_lllT3_lmli ; -- Begin function _ZL19rocblas_sger_kernelILi1024EffPKPKfPKPfEviiT1_lT2_lllS8_lllT3_lmli
	.p2align	8
	.type	_ZL19rocblas_sger_kernelILi1024EffPKPKfPKPfEviiT1_lT2_lllS8_lllT3_lmli,@function
_ZL19rocblas_sger_kernelILi1024EffPKPKfPKPfEviiT1_lT2_lllS8_lllT3_lmli: ; @_ZL19rocblas_sger_kernelILi1024EffPKPKfPKPfEviiT1_lT2_lllS8_lllT3_lmli
; %bb.0:
	s_load_b32 s20, s[0:1], 0x78
	s_lshr_b32 s2, ttmp7, 16
	s_wait_kmcnt 0x0
	s_cmp_ge_u32 s2, s20
	s_cbranch_scc1 .LBB38_8
; %bb.1:
	s_clause 0x7
	s_load_b128 s[12:15], s[0:1], 0x20
	s_load_b32 s21, s[0:1], 0x0
	s_load_b32 s22, s[0:1], 0x8
	s_load_b128 s[16:19], s[0:1], 0x40
	s_load_b128 s[24:27], s[0:1], 0x60
	s_load_b64 s[4:5], s[0:1], 0x18
	s_load_b64 s[6:7], s[0:1], 0x58
	;; [unrolled: 1-line block ×3, first 2 shown]
	s_mov_b32 s28, ttmp9
	s_mov_b32 s3, 0
	s_wait_kmcnt 0x0
	v_mad_co_u64_u32 v[1:2], null, s14, v0, 0
	v_cmp_gt_i32_e64 s0, s21, v0
	s_cmp_neq_f32 s22, 0
	s_cselect_b32 s23, -1, 0
	v_mad_co_u64_u32 v[2:3], null, s15, v0, v[2:3]
	v_cndmask_b32_e64 v3, 0, v0, s0
	s_lshl_b64 s[30:31], s[12:13], 2
	s_ashr_i32 s29, ttmp9, 31
	s_lshl_b64 s[12:13], s[16:17], 2
	s_mul_u64 s[16:17], s[26:27], s[28:29]
	v_lshlrev_b32_e32 v7, 2, v3
	s_delay_alu instid0(VALU_DEP_3)
	v_lshlrev_b64_e32 v[1:2], 2, v[1:2]
	s_mul_u64 s[18:19], s[18:19], s[28:29]
	s_lshl_b64 s[10:11], s[14:15], 12
	s_lshl_b64 s[14:15], s[24:25], 2
	;; [unrolled: 1-line block ×4, first 2 shown]
	v_add_co_u32 v5, vcc_lo, v1, s30
	s_delay_alu instid0(VALU_DEP_1)
	v_add_co_ci_u32_e64 v6, null, s31, v2, vcc_lo
	s_branch .LBB38_4
.LBB38_2:                               ;   in Loop: Header=BB38_4 Depth=1
	s_or_b32 exec_lo, exec_lo, s24
.LBB38_3:                               ;   in Loop: Header=BB38_4 Depth=1
	s_add_co_i32 s2, s2, 0x10000
	s_delay_alu instid0(SALU_CYCLE_1)
	s_cmp_lt_u32 s2, s20
	s_cbranch_scc0 .LBB38_8
.LBB38_4:                               ; =>This Loop Header: Depth=1
                                        ;     Child Loop BB38_7 Depth 2
	s_and_not1_b32 vcc_lo, exec_lo, s23
	s_wait_alu 0xfffe
	s_cbranch_vccnz .LBB38_3
; %bb.5:                                ;   in Loop: Header=BB38_4 Depth=1
	s_and_saveexec_b32 s24, s0
	s_cbranch_execz .LBB38_2
; %bb.6:                                ;   in Loop: Header=BB38_4 Depth=1
	s_lshl_b64 s[26:27], s[2:3], 3
	s_mov_b32 s25, 0
	s_wait_alu 0xfffe
	s_add_nc_u64 s[28:29], s[8:9], s[26:27]
	v_mov_b32_e32 v9, v0
	s_load_b64 s[28:29], s[28:29], 0x0
	s_wait_kmcnt 0x0
	s_add_nc_u64 s[28:29], s[28:29], s[12:13]
	s_wait_alu 0xfffe
	s_add_nc_u64 s[28:29], s[28:29], s[18:19]
	s_wait_alu 0xfffe
	v_dual_mov_b32 v1, s28 :: v_dual_mov_b32 v2, s29
	s_add_nc_u64 s[28:29], s[6:7], s[26:27]
	s_add_nc_u64 s[26:27], s[4:5], s[26:27]
	s_load_b64 s[28:29], s[28:29], 0x0
	s_load_b64 s[26:27], s[26:27], 0x0
	flat_load_b32 v8, v[1:2]
	s_wait_kmcnt 0x0
	s_add_nc_u64 s[28:29], s[28:29], s[14:15]
	v_add_co_u32 v1, vcc_lo, s26, v5
	s_wait_alu 0xfffe
	v_add_co_u32 v3, s1, s28, v7
	s_wait_alu 0xf1ff
	v_add_co_ci_u32_e64 v4, null, s29, 0, s1
	s_wait_alu 0xfffd
	v_add_co_ci_u32_e64 v2, null, s27, v6, vcc_lo
	v_add_co_u32 v3, vcc_lo, v3, s16
	s_wait_alu 0xfffd
	v_add_co_ci_u32_e64 v4, null, s17, v4, vcc_lo
	s_wait_loadcnt_dscnt 0x0
	v_mul_f32_e32 v8, s22, v8
.LBB38_7:                               ;   Parent Loop BB38_4 Depth=1
                                        ; =>  This Inner Loop Header: Depth=2
	flat_load_b32 v10, v[1:2]
	flat_load_b32 v11, v[3:4]
	v_add_nc_u32_e32 v9, 0x400, v9
	v_add_co_u32 v1, vcc_lo, v1, s10
	s_wait_alu 0xfffd
	v_add_co_ci_u32_e64 v2, null, s11, v2, vcc_lo
	s_delay_alu instid0(VALU_DEP_3)
	v_cmp_le_i32_e32 vcc_lo, s21, v9
	s_or_b32 s25, vcc_lo, s25
	s_wait_loadcnt_dscnt 0x0
	v_fmac_f32_e32 v11, v8, v10
	flat_store_b32 v[3:4], v11
	v_add_co_u32 v3, s1, 0x1000, v3
	s_wait_alu 0xf1ff
	v_add_co_ci_u32_e64 v4, null, 0, v4, s1
	s_and_not1_b32 exec_lo, exec_lo, s25
	s_cbranch_execnz .LBB38_7
	s_branch .LBB38_2
.LBB38_8:
	s_endpgm
	.section	.rodata,"a",@progbits
	.p2align	6, 0x0
	.amdhsa_kernel _ZL19rocblas_sger_kernelILi1024EffPKPKfPKPfEviiT1_lT2_lllS8_lllT3_lmli
		.amdhsa_group_segment_fixed_size 0
		.amdhsa_private_segment_fixed_size 0
		.amdhsa_kernarg_size 124
		.amdhsa_user_sgpr_count 2
		.amdhsa_user_sgpr_dispatch_ptr 0
		.amdhsa_user_sgpr_queue_ptr 0
		.amdhsa_user_sgpr_kernarg_segment_ptr 1
		.amdhsa_user_sgpr_dispatch_id 0
		.amdhsa_user_sgpr_private_segment_size 0
		.amdhsa_wavefront_size32 1
		.amdhsa_uses_dynamic_stack 0
		.amdhsa_enable_private_segment 0
		.amdhsa_system_sgpr_workgroup_id_x 1
		.amdhsa_system_sgpr_workgroup_id_y 0
		.amdhsa_system_sgpr_workgroup_id_z 1
		.amdhsa_system_sgpr_workgroup_info 0
		.amdhsa_system_vgpr_workitem_id 0
		.amdhsa_next_free_vgpr 12
		.amdhsa_next_free_sgpr 32
		.amdhsa_reserve_vcc 1
		.amdhsa_float_round_mode_32 0
		.amdhsa_float_round_mode_16_64 0
		.amdhsa_float_denorm_mode_32 3
		.amdhsa_float_denorm_mode_16_64 3
		.amdhsa_fp16_overflow 0
		.amdhsa_workgroup_processor_mode 1
		.amdhsa_memory_ordered 1
		.amdhsa_forward_progress 1
		.amdhsa_inst_pref_size 5
		.amdhsa_round_robin_scheduling 0
		.amdhsa_exception_fp_ieee_invalid_op 0
		.amdhsa_exception_fp_denorm_src 0
		.amdhsa_exception_fp_ieee_div_zero 0
		.amdhsa_exception_fp_ieee_overflow 0
		.amdhsa_exception_fp_ieee_underflow 0
		.amdhsa_exception_fp_ieee_inexact 0
		.amdhsa_exception_int_div_zero 0
	.end_amdhsa_kernel
	.section	.text._ZL19rocblas_sger_kernelILi1024EffPKPKfPKPfEviiT1_lT2_lllS8_lllT3_lmli,"axG",@progbits,_ZL19rocblas_sger_kernelILi1024EffPKPKfPKPfEviiT1_lT2_lllS8_lllT3_lmli,comdat
.Lfunc_end38:
	.size	_ZL19rocblas_sger_kernelILi1024EffPKPKfPKPfEviiT1_lT2_lllS8_lllT3_lmli, .Lfunc_end38-_ZL19rocblas_sger_kernelILi1024EffPKPKfPKPfEviiT1_lT2_lllS8_lllT3_lmli
                                        ; -- End function
	.set _ZL19rocblas_sger_kernelILi1024EffPKPKfPKPfEviiT1_lT2_lllS8_lllT3_lmli.num_vgpr, 12
	.set _ZL19rocblas_sger_kernelILi1024EffPKPKfPKPfEviiT1_lT2_lllS8_lllT3_lmli.num_agpr, 0
	.set _ZL19rocblas_sger_kernelILi1024EffPKPKfPKPfEviiT1_lT2_lllS8_lllT3_lmli.numbered_sgpr, 32
	.set _ZL19rocblas_sger_kernelILi1024EffPKPKfPKPfEviiT1_lT2_lllS8_lllT3_lmli.num_named_barrier, 0
	.set _ZL19rocblas_sger_kernelILi1024EffPKPKfPKPfEviiT1_lT2_lllS8_lllT3_lmli.private_seg_size, 0
	.set _ZL19rocblas_sger_kernelILi1024EffPKPKfPKPfEviiT1_lT2_lllS8_lllT3_lmli.uses_vcc, 1
	.set _ZL19rocblas_sger_kernelILi1024EffPKPKfPKPfEviiT1_lT2_lllS8_lllT3_lmli.uses_flat_scratch, 0
	.set _ZL19rocblas_sger_kernelILi1024EffPKPKfPKPfEviiT1_lT2_lllS8_lllT3_lmli.has_dyn_sized_stack, 0
	.set _ZL19rocblas_sger_kernelILi1024EffPKPKfPKPfEviiT1_lT2_lllS8_lllT3_lmli.has_recursion, 0
	.set _ZL19rocblas_sger_kernelILi1024EffPKPKfPKPfEviiT1_lT2_lllS8_lllT3_lmli.has_indirect_call, 0
	.section	.AMDGPU.csdata,"",@progbits
; Kernel info:
; codeLenInByte = 556
; TotalNumSgprs: 34
; NumVgprs: 12
; ScratchSize: 0
; MemoryBound: 0
; FloatMode: 240
; IeeeMode: 1
; LDSByteSize: 0 bytes/workgroup (compile time only)
; SGPRBlocks: 0
; VGPRBlocks: 1
; NumSGPRsForWavesPerEU: 34
; NumVGPRsForWavesPerEU: 12
; Occupancy: 16
; WaveLimiterHint : 1
; COMPUTE_PGM_RSRC2:SCRATCH_EN: 0
; COMPUTE_PGM_RSRC2:USER_SGPR: 2
; COMPUTE_PGM_RSRC2:TRAP_HANDLER: 0
; COMPUTE_PGM_RSRC2:TGID_X_EN: 1
; COMPUTE_PGM_RSRC2:TGID_Y_EN: 0
; COMPUTE_PGM_RSRC2:TGID_Z_EN: 1
; COMPUTE_PGM_RSRC2:TIDIG_COMP_CNT: 0
	.section	.text._ZL18rocblas_ger_kernelILi32ELi32ELi2ELb0EfPKfPKS1_PKPfEviiT4_lT5_lllS8_lllT6_lmli,"axG",@progbits,_ZL18rocblas_ger_kernelILi32ELi32ELi2ELb0EfPKfPKS1_PKPfEviiT4_lT5_lllS8_lllT6_lmli,comdat
	.globl	_ZL18rocblas_ger_kernelILi32ELi32ELi2ELb0EfPKfPKS1_PKPfEviiT4_lT5_lllS8_lllT6_lmli ; -- Begin function _ZL18rocblas_ger_kernelILi32ELi32ELi2ELb0EfPKfPKS1_PKPfEviiT4_lT5_lllS8_lllT6_lmli
	.p2align	8
	.type	_ZL18rocblas_ger_kernelILi32ELi32ELi2ELb0EfPKfPKS1_PKPfEviiT4_lT5_lllS8_lllT6_lmli,@function
_ZL18rocblas_ger_kernelILi32ELi32ELi2ELb0EfPKfPKS1_PKPfEviiT4_lT5_lllS8_lllT6_lmli: ; @_ZL18rocblas_ger_kernelILi32ELi32ELi2ELb0EfPKfPKS1_PKPfEviiT4_lT5_lllS8_lllT6_lmli
; %bb.0:
	s_load_b32 s30, s[0:1], 0x78
	s_lshr_b32 s6, ttmp7, 16
	s_wait_kmcnt 0x0
	s_cmp_ge_u32 s6, s30
	s_cbranch_scc1 .LBB39_18
; %bb.1:
	s_clause 0x7
	s_load_b64 s[4:5], s[0:1], 0x0
	s_load_b128 s[8:11], s[0:1], 0x8
	s_load_b64 s[24:25], s[0:1], 0x18
	s_load_b128 s[12:15], s[0:1], 0x20
	;; [unrolled: 2-line block ×4, first 2 shown]
	s_wait_kmcnt 0x0
	s_add_co_i32 s2, s4, -1
	s_delay_alu instid0(SALU_CYCLE_1) | instskip(NEXT) | instid1(SALU_CYCLE_1)
	s_ashr_i32 s3, s2, 31
	s_lshr_b32 s3, s3, 27
	s_delay_alu instid0(SALU_CYCLE_1) | instskip(NEXT) | instid1(SALU_CYCLE_1)
	s_add_co_i32 s2, s2, s3
	s_ashr_i32 s2, s2, 5
	s_delay_alu instid0(SALU_CYCLE_1) | instskip(SKIP_2) | instid1(SALU_CYCLE_3)
	s_add_co_i32 s3, s2, 1
	s_not_b32 s2, s2
	s_cvt_f32_u32 s7, s3
	v_rcp_iflag_f32_e32 v1, s7
	s_delay_alu instid0(TRANS32_DEP_1) | instskip(SKIP_3) | instid1(VALU_DEP_2)
	v_readfirstlane_b32 s7, v1
	v_bfe_u32 v1, v0, 10, 10
	v_and_b32_e32 v0, 0x3ff, v0
	s_mul_f32 s7, s7, 0x4f7ffffe
	v_lshlrev_b32_e32 v2, 1, v1
	s_delay_alu instid0(VALU_DEP_2) | instskip(SKIP_3) | instid1(VALU_DEP_2)
	v_lshlrev_b32_e32 v3, 2, v0
	v_lshlrev_b32_e32 v10, 3, v1
	s_wait_alu 0xfffe
	s_cvt_u32_f32 s7, s7
	v_add_nc_u32_e32 v11, 0x100, v3
	s_wait_alu 0xfffe
	s_delay_alu instid0(SALU_CYCLE_1) | instskip(SKIP_2) | instid1(SALU_CYCLE_1)
	s_mul_i32 s2, s2, s7
	v_add_nc_u32_e32 v12, v10, v3
	s_mul_hi_u32 s0, s7, s2
	s_add_co_i32 s0, s7, s0
	s_mov_b32 s7, 0
	s_mul_hi_u32 s1, ttmp9, s0
	v_cmp_eq_u32_e64 s0, 0, v1
	s_mul_i32 s2, s1, s3
	s_add_co_i32 s31, s1, 1
	s_sub_co_i32 s2, ttmp9, s2
	s_delay_alu instid0(SALU_CYCLE_1)
	s_sub_co_i32 s33, s2, s3
	s_cmp_ge_u32 s2, s3
	s_cselect_b32 s1, s31, s1
	s_cselect_b32 s2, s33, s2
	s_add_co_i32 s31, s1, 1
	s_cmp_ge_u32 s2, s3
	s_cselect_b32 s2, s31, s1
	v_cmp_gt_u32_e64 s1, 2, v0
	v_lshl_add_u32 v13, s2, 6, v2
	s_mul_i32 s2, s2, s3
	s_lshl_b64 s[12:13], s[12:13], 2
	s_wait_alu 0xfffe
	s_sub_co_i32 s2, ttmp9, s2
	v_or_b32_e32 v14, v13, v0
	s_wait_alu 0xfffe
	v_lshl_add_u32 v0, s2, 5, v0
	v_ashrrev_i32_e32 v8, 31, v13
	v_or_b32_e32 v16, 1, v13
	v_mul_lo_u32 v15, s23, v13
	v_mad_co_u64_u32 v[6:7], null, s18, v14, 0
	v_ashrrev_i32_e32 v1, 31, v0
	v_mul_lo_u32 v18, s22, v8
	v_mad_co_u64_u32 v[2:3], null, s22, v13, 0
	v_mul_lo_u32 v17, s15, v0
	v_mad_co_u64_u32 v[4:5], null, s14, v0, 0
	v_mad_co_u64_u32 v[7:8], null, s19, v14, v[7:8]
	v_mul_lo_u32 v19, s23, v16
	v_mul_lo_u32 v20, s14, v1
	v_mad_co_u64_u32 v[8:9], null, s22, v16, 0
	v_add3_u32 v3, v3, v18, v15
	v_cmp_gt_i32_e64 s3, s4, v0
	v_lshlrev_b64_e32 v[0:1], 2, v[0:1]
	v_lshlrev_b64_e32 v[6:7], 2, v[6:7]
	v_cmp_gt_i32_e64 s2, s5, v13
	v_add3_u32 v5, v5, v20, v17
	v_add3_u32 v9, v9, v18, v19
	v_lshlrev_b64_e32 v[2:3], 2, v[2:3]
	v_cmp_gt_u32_e64 s4, s5, v14
	v_cmp_gt_i32_e64 s5, s5, v16
	v_lshlrev_b64_e32 v[4:5], 2, v[4:5]
	v_lshlrev_b64_e32 v[8:9], 2, v[8:9]
	v_mov_b32_e32 v13, 0
	s_lshl_b64 s[14:15], s[16:17], 2
	s_lshl_b64 s[16:17], s[20:21], 2
	s_branch .LBB39_4
.LBB39_2:                               ;   in Loop: Header=BB39_4 Depth=1
	s_wait_alu 0xfffe
	s_or_b32 exec_lo, exec_lo, s20
.LBB39_3:                               ;   in Loop: Header=BB39_4 Depth=1
	s_add_co_i32 s6, s6, 0x10000
	s_wait_alu 0xfffe
	s_cmp_lt_u32 s6, s30
	s_cbranch_scc0 .LBB39_18
.LBB39_4:                               ; =>This Inner Loop Header: Depth=1
	s_mul_u64 s[18:19], s[10:11], s[6:7]
	s_wait_alu 0xfffe
	s_lshl_b64 s[18:19], s[18:19], 2
	s_wait_alu 0xfffe
	s_add_nc_u64 s[18:19], s[8:9], s[18:19]
	global_load_b32 v14, v13, s[18:19]
	s_wait_loadcnt 0x0
	v_cmp_eq_f32_e32 vcc_lo, 0, v14
	s_cbranch_vccnz .LBB39_3
; %bb.5:                                ;   in Loop: Header=BB39_4 Depth=1
	s_lshl_b64 s[22:23], s[6:7], 3
	s_wait_alu 0xfffe
	s_add_nc_u64 s[18:19], s[26:27], s[22:23]
	s_add_nc_u64 s[34:35], s[28:29], s[22:23]
	s_load_b64 s[20:21], s[18:19], 0x0
	s_load_b64 s[18:19], s[34:35], 0x0
	s_and_saveexec_b32 s31, s0
	s_cbranch_execz .LBB39_9
; %bb.6:                                ;   in Loop: Header=BB39_4 Depth=1
	v_mov_b32_e32 v15, 0
	s_and_saveexec_b32 s33, s3
	s_cbranch_execz .LBB39_8
; %bb.7:                                ;   in Loop: Header=BB39_4 Depth=1
	s_add_nc_u64 s[22:23], s[24:25], s[22:23]
	s_load_b64 s[22:23], s[22:23], 0x0
	s_wait_kmcnt 0x0
	s_add_nc_u64 s[22:23], s[22:23], s[12:13]
	s_wait_alu 0xfffe
	v_add_co_u32 v15, vcc_lo, s22, v4
	s_wait_alu 0xfffd
	v_add_co_ci_u32_e64 v16, null, s23, v5, vcc_lo
	flat_load_b32 v15, v[15:16]
.LBB39_8:                               ;   in Loop: Header=BB39_4 Depth=1
	s_or_b32 exec_lo, exec_lo, s33
	s_wait_loadcnt_dscnt 0x0
	ds_store_b32 v11, v15
.LBB39_9:                               ;   in Loop: Header=BB39_4 Depth=1
	s_or_b32 exec_lo, exec_lo, s31
	s_and_saveexec_b32 s22, s1
	s_cbranch_execz .LBB39_13
; %bb.10:                               ;   in Loop: Header=BB39_4 Depth=1
	v_mov_b32_e32 v15, 0
	s_and_saveexec_b32 s23, s4
	s_cbranch_execz .LBB39_12
; %bb.11:                               ;   in Loop: Header=BB39_4 Depth=1
	s_wait_kmcnt 0x0
	s_add_nc_u64 s[20:21], s[20:21], s[14:15]
	s_wait_alu 0xfffe
	v_add_co_u32 v15, vcc_lo, s20, v6
	s_wait_alu 0xfffd
	v_add_co_ci_u32_e64 v16, null, s21, v7, vcc_lo
	flat_load_b32 v15, v[15:16]
.LBB39_12:                              ;   in Loop: Header=BB39_4 Depth=1
	s_wait_alu 0xfffe
	s_or_b32 exec_lo, exec_lo, s23
	s_wait_loadcnt_dscnt 0x0
	ds_store_b32 v12, v15
.LBB39_13:                              ;   in Loop: Header=BB39_4 Depth=1
	s_wait_alu 0xfffe
	s_or_b32 exec_lo, exec_lo, s22
	s_wait_dscnt 0x0
	s_barrier_signal -1
	s_barrier_wait -1
	global_inv scope:SCOPE_SE
	s_wait_kmcnt 0x0
	s_and_saveexec_b32 s20, s3
	s_cbranch_execz .LBB39_2
; %bb.14:                               ;   in Loop: Header=BB39_4 Depth=1
	ds_load_b32 v15, v11
	s_add_nc_u64 s[18:19], s[18:19], s[16:17]
	s_wait_dscnt 0x0
	v_mul_f32_e32 v14, v14, v15
	s_wait_alu 0xfffe
	v_add_co_u32 v15, vcc_lo, s18, v0
	s_wait_alu 0xfffd
	v_add_co_ci_u32_e64 v16, null, s19, v1, vcc_lo
	s_and_saveexec_b32 s18, s2
	s_cbranch_execz .LBB39_16
; %bb.15:                               ;   in Loop: Header=BB39_4 Depth=1
	v_add_co_u32 v17, vcc_lo, v15, v2
	s_wait_alu 0xfffd
	v_add_co_ci_u32_e64 v18, null, v16, v3, vcc_lo
	ds_load_b32 v20, v10
	flat_load_b32 v19, v[17:18]
	s_wait_loadcnt_dscnt 0x0
	v_fmac_f32_e32 v19, v14, v20
	flat_store_b32 v[17:18], v19
.LBB39_16:                              ;   in Loop: Header=BB39_4 Depth=1
	s_wait_alu 0xfffe
	s_or_b32 exec_lo, exec_lo, s18
	s_delay_alu instid0(SALU_CYCLE_1)
	s_and_b32 exec_lo, exec_lo, s5
	s_cbranch_execz .LBB39_2
; %bb.17:                               ;   in Loop: Header=BB39_4 Depth=1
	v_add_co_u32 v15, vcc_lo, v15, v8
	s_wait_alu 0xfffd
	v_add_co_ci_u32_e64 v16, null, v16, v9, vcc_lo
	ds_load_b32 v18, v10 offset:4
	flat_load_b32 v17, v[15:16]
	s_wait_loadcnt_dscnt 0x0
	v_fmac_f32_e32 v17, v14, v18
	flat_store_b32 v[15:16], v17
	s_branch .LBB39_2
.LBB39_18:
	s_endpgm
	.section	.rodata,"a",@progbits
	.p2align	6, 0x0
	.amdhsa_kernel _ZL18rocblas_ger_kernelILi32ELi32ELi2ELb0EfPKfPKS1_PKPfEviiT4_lT5_lllS8_lllT6_lmli
		.amdhsa_group_segment_fixed_size 384
		.amdhsa_private_segment_fixed_size 0
		.amdhsa_kernarg_size 124
		.amdhsa_user_sgpr_count 2
		.amdhsa_user_sgpr_dispatch_ptr 0
		.amdhsa_user_sgpr_queue_ptr 0
		.amdhsa_user_sgpr_kernarg_segment_ptr 1
		.amdhsa_user_sgpr_dispatch_id 0
		.amdhsa_user_sgpr_private_segment_size 0
		.amdhsa_wavefront_size32 1
		.amdhsa_uses_dynamic_stack 0
		.amdhsa_enable_private_segment 0
		.amdhsa_system_sgpr_workgroup_id_x 1
		.amdhsa_system_sgpr_workgroup_id_y 0
		.amdhsa_system_sgpr_workgroup_id_z 1
		.amdhsa_system_sgpr_workgroup_info 0
		.amdhsa_system_vgpr_workitem_id 1
		.amdhsa_next_free_vgpr 21
		.amdhsa_next_free_sgpr 36
		.amdhsa_reserve_vcc 1
		.amdhsa_float_round_mode_32 0
		.amdhsa_float_round_mode_16_64 0
		.amdhsa_float_denorm_mode_32 3
		.amdhsa_float_denorm_mode_16_64 3
		.amdhsa_fp16_overflow 0
		.amdhsa_workgroup_processor_mode 1
		.amdhsa_memory_ordered 1
		.amdhsa_forward_progress 1
		.amdhsa_inst_pref_size 9
		.amdhsa_round_robin_scheduling 0
		.amdhsa_exception_fp_ieee_invalid_op 0
		.amdhsa_exception_fp_denorm_src 0
		.amdhsa_exception_fp_ieee_div_zero 0
		.amdhsa_exception_fp_ieee_overflow 0
		.amdhsa_exception_fp_ieee_underflow 0
		.amdhsa_exception_fp_ieee_inexact 0
		.amdhsa_exception_int_div_zero 0
	.end_amdhsa_kernel
	.section	.text._ZL18rocblas_ger_kernelILi32ELi32ELi2ELb0EfPKfPKS1_PKPfEviiT4_lT5_lllS8_lllT6_lmli,"axG",@progbits,_ZL18rocblas_ger_kernelILi32ELi32ELi2ELb0EfPKfPKS1_PKPfEviiT4_lT5_lllS8_lllT6_lmli,comdat
.Lfunc_end39:
	.size	_ZL18rocblas_ger_kernelILi32ELi32ELi2ELb0EfPKfPKS1_PKPfEviiT4_lT5_lllS8_lllT6_lmli, .Lfunc_end39-_ZL18rocblas_ger_kernelILi32ELi32ELi2ELb0EfPKfPKS1_PKPfEviiT4_lT5_lllS8_lllT6_lmli
                                        ; -- End function
	.set _ZL18rocblas_ger_kernelILi32ELi32ELi2ELb0EfPKfPKS1_PKPfEviiT4_lT5_lllS8_lllT6_lmli.num_vgpr, 21
	.set _ZL18rocblas_ger_kernelILi32ELi32ELi2ELb0EfPKfPKS1_PKPfEviiT4_lT5_lllS8_lllT6_lmli.num_agpr, 0
	.set _ZL18rocblas_ger_kernelILi32ELi32ELi2ELb0EfPKfPKS1_PKPfEviiT4_lT5_lllS8_lllT6_lmli.numbered_sgpr, 36
	.set _ZL18rocblas_ger_kernelILi32ELi32ELi2ELb0EfPKfPKS1_PKPfEviiT4_lT5_lllS8_lllT6_lmli.num_named_barrier, 0
	.set _ZL18rocblas_ger_kernelILi32ELi32ELi2ELb0EfPKfPKS1_PKPfEviiT4_lT5_lllS8_lllT6_lmli.private_seg_size, 0
	.set _ZL18rocblas_ger_kernelILi32ELi32ELi2ELb0EfPKfPKS1_PKPfEviiT4_lT5_lllS8_lllT6_lmli.uses_vcc, 1
	.set _ZL18rocblas_ger_kernelILi32ELi32ELi2ELb0EfPKfPKS1_PKPfEviiT4_lT5_lllS8_lllT6_lmli.uses_flat_scratch, 0
	.set _ZL18rocblas_ger_kernelILi32ELi32ELi2ELb0EfPKfPKS1_PKPfEviiT4_lT5_lllS8_lllT6_lmli.has_dyn_sized_stack, 0
	.set _ZL18rocblas_ger_kernelILi32ELi32ELi2ELb0EfPKfPKS1_PKPfEviiT4_lT5_lllS8_lllT6_lmli.has_recursion, 0
	.set _ZL18rocblas_ger_kernelILi32ELi32ELi2ELb0EfPKfPKS1_PKPfEviiT4_lT5_lllS8_lllT6_lmli.has_indirect_call, 0
	.section	.AMDGPU.csdata,"",@progbits
; Kernel info:
; codeLenInByte = 1052
; TotalNumSgprs: 38
; NumVgprs: 21
; ScratchSize: 0
; MemoryBound: 0
; FloatMode: 240
; IeeeMode: 1
; LDSByteSize: 384 bytes/workgroup (compile time only)
; SGPRBlocks: 0
; VGPRBlocks: 2
; NumSGPRsForWavesPerEU: 38
; NumVGPRsForWavesPerEU: 21
; Occupancy: 16
; WaveLimiterHint : 1
; COMPUTE_PGM_RSRC2:SCRATCH_EN: 0
; COMPUTE_PGM_RSRC2:USER_SGPR: 2
; COMPUTE_PGM_RSRC2:TRAP_HANDLER: 0
; COMPUTE_PGM_RSRC2:TGID_X_EN: 1
; COMPUTE_PGM_RSRC2:TGID_Y_EN: 0
; COMPUTE_PGM_RSRC2:TGID_Z_EN: 1
; COMPUTE_PGM_RSRC2:TIDIG_COMP_CNT: 1
	.section	.text._ZL18rocblas_ger_kernelILi32ELi32ELi2ELb0EffPKPKfPKPfEviiT4_lT5_lllS8_lllT6_lmli,"axG",@progbits,_ZL18rocblas_ger_kernelILi32ELi32ELi2ELb0EffPKPKfPKPfEviiT4_lT5_lllS8_lllT6_lmli,comdat
	.globl	_ZL18rocblas_ger_kernelILi32ELi32ELi2ELb0EffPKPKfPKPfEviiT4_lT5_lllS8_lllT6_lmli ; -- Begin function _ZL18rocblas_ger_kernelILi32ELi32ELi2ELb0EffPKPKfPKPfEviiT4_lT5_lllS8_lllT6_lmli
	.p2align	8
	.type	_ZL18rocblas_ger_kernelILi32ELi32ELi2ELb0EffPKPKfPKPfEviiT4_lT5_lllS8_lllT6_lmli,@function
_ZL18rocblas_ger_kernelILi32ELi32ELi2ELb0EffPKPKfPKPfEviiT4_lT5_lllS8_lllT6_lmli: ; @_ZL18rocblas_ger_kernelILi32ELi32ELi2ELb0EffPKPKfPKPfEviiT4_lT5_lllS8_lllT6_lmli
; %bb.0:
	s_load_b32 s7, s[0:1], 0x78
	s_lshr_b32 s20, ttmp7, 16
	s_wait_kmcnt 0x0
	s_cmp_ge_u32 s20, s7
	s_cbranch_scc1 .LBB40_18
; %bb.1:
	s_clause 0x1
	s_load_b96 s[4:6], s[0:1], 0x0
	s_load_b64 s[22:23], s[0:1], 0x18
	v_and_b32_e32 v2, 0x3ff, v0
	s_mov_b32 s21, 0
	s_wait_kmcnt 0x0
	s_add_co_i32 s2, s4, -1
	s_delay_alu instid0(SALU_CYCLE_1) | instskip(NEXT) | instid1(SALU_CYCLE_1)
	s_ashr_i32 s3, s2, 31
	s_lshr_b32 s3, s3, 27
	s_delay_alu instid0(SALU_CYCLE_1) | instskip(NEXT) | instid1(SALU_CYCLE_1)
	s_add_co_i32 s2, s2, s3
	s_ashr_i32 s2, s2, 5
	s_delay_alu instid0(SALU_CYCLE_1) | instskip(NEXT) | instid1(SALU_CYCLE_1)
	s_add_co_i32 s3, s2, 1
	s_cvt_f32_u32 s8, s3
	s_delay_alu instid0(SALU_CYCLE_3) | instskip(NEXT) | instid1(TRANS32_DEP_1)
	v_rcp_iflag_f32_e32 v1, s8
	v_readfirstlane_b32 s8, v1
	v_bfe_u32 v1, v0, 10, 10
	s_mul_f32 s16, s8, 0x4f7ffffe
	s_clause 0x3
	s_load_b64 s[24:25], s[0:1], 0x38
	s_load_b128 s[8:11], s[0:1], 0x20
	s_load_b64 s[26:27], s[0:1], 0x58
	s_load_b128 s[12:15], s[0:1], 0x40
	v_lshlrev_b32_e32 v0, 1, v1
	v_lshlrev_b32_e32 v10, 3, v1
	s_cvt_u32_f32 s28, s16
	s_load_b128 s[16:19], s[0:1], 0x60
	s_not_b32 s0, s2
	s_delay_alu instid0(SALU_CYCLE_1) | instskip(NEXT) | instid1(SALU_CYCLE_1)
	s_mul_i32 s0, s0, s28
	s_mul_hi_u32 s0, s28, s0
	s_delay_alu instid0(SALU_CYCLE_1) | instskip(SKIP_2) | instid1(SALU_CYCLE_1)
	s_add_co_i32 s28, s28, s0
	v_cmp_eq_u32_e64 s0, 0, v1
	s_mul_hi_u32 s2, ttmp9, s28
	s_mul_i32 s1, s2, s3
	s_add_co_i32 s29, s2, 1
	s_sub_co_i32 s28, ttmp9, s1
	s_delay_alu instid0(SALU_CYCLE_1)
	s_sub_co_i32 s30, s28, s3
	s_cmp_ge_u32 s28, s3
	s_cselect_b32 s2, s29, s2
	s_cselect_b32 s28, s30, s28
	s_add_co_i32 s29, s2, 1
	s_cmp_ge_u32 s28, s3
	s_cselect_b32 s2, s29, s2
	s_delay_alu instid0(SALU_CYCLE_1)
	v_lshl_add_u32 v15, s2, 6, v0
	s_mul_i32 s2, s2, s3
	s_wait_alu 0xfffe
	s_sub_co_i32 s2, ttmp9, s2
	s_cmp_neq_f32 s6, 0
	v_or_b32_e32 v16, v15, v2
	s_wait_alu 0xfffe
	v_lshl_add_u32 v0, s2, 5, v2
	v_ashrrev_i32_e32 v4, 31, v15
	v_or_b32_e32 v18, 1, v15
	s_wait_kmcnt 0x0
	v_mul_lo_u32 v17, s19, v15
	v_mad_co_u64_u32 v[8:9], null, s14, v16, 0
	v_ashrrev_i32_e32 v1, 31, v0
	v_mul_lo_u32 v20, s18, v4
	v_mul_lo_u32 v19, s11, v0
	v_mad_co_u64_u32 v[6:7], null, s10, v0, 0
	v_mul_lo_u32 v21, s19, v18
	v_mov_b32_e32 v4, v9
	v_mul_lo_u32 v9, s10, v1
	v_mad_co_u64_u32 v[13:14], null, s18, v18, 0
	v_cmp_gt_i32_e64 s3, s4, v0
	s_delay_alu instid0(VALU_DEP_4)
	v_mad_co_u64_u32 v[4:5], null, s15, v16, v[4:5]
	v_lshlrev_b64_e32 v[0:1], 2, v[0:1]
	v_cmp_gt_i32_e64 s2, s5, v15
	v_add3_u32 v7, v7, v9, v19
	v_add3_u32 v14, v14, v20, v21
	v_cmp_gt_u32_e64 s4, s5, v16
	v_cmp_gt_i32_e64 s5, s5, v18
	v_mov_b32_e32 v9, v4
	v_lshlrev_b32_e32 v3, 2, v2
	v_cmp_gt_u32_e64 s1, 2, v2
	v_lshlrev_b64_e32 v[4:5], 2, v[13:14]
	v_lshlrev_b64_e32 v[6:7], 2, v[6:7]
	v_lshlrev_b64_e32 v[8:9], 2, v[8:9]
	v_add_nc_u32_e32 v11, 0x100, v3
	v_add_nc_u32_e32 v12, v10, v3
	v_mad_co_u64_u32 v[2:3], null, s18, v15, 0
	s_cselect_b32 s28, -1, 0
	s_lshl_b64 s[8:9], s[8:9], 2
	s_lshl_b64 s[10:11], s[12:13], 2
	;; [unrolled: 1-line block ×3, first 2 shown]
	v_add3_u32 v3, v3, v20, v17
	s_delay_alu instid0(VALU_DEP_1)
	v_lshlrev_b64_e32 v[2:3], 2, v[2:3]
	s_branch .LBB40_4
.LBB40_2:                               ;   in Loop: Header=BB40_4 Depth=1
	s_wait_alu 0xfffe
	s_or_b32 exec_lo, exec_lo, s16
.LBB40_3:                               ;   in Loop: Header=BB40_4 Depth=1
	s_add_co_i32 s20, s20, 0x10000
	s_delay_alu instid0(SALU_CYCLE_1)
	s_cmp_lt_u32 s20, s7
	s_cbranch_scc0 .LBB40_18
.LBB40_4:                               ; =>This Inner Loop Header: Depth=1
	s_and_not1_b32 vcc_lo, exec_lo, s28
	s_wait_alu 0xfffe
	s_cbranch_vccnz .LBB40_3
; %bb.5:                                ;   in Loop: Header=BB40_4 Depth=1
	s_lshl_b64 s[18:19], s[20:21], 3
	s_wait_alu 0xfffe
	s_add_nc_u64 s[14:15], s[24:25], s[18:19]
	s_add_nc_u64 s[30:31], s[26:27], s[18:19]
	s_load_b64 s[16:17], s[14:15], 0x0
	s_load_b64 s[14:15], s[30:31], 0x0
	s_and_saveexec_b32 s29, s0
	s_cbranch_execz .LBB40_9
; %bb.6:                                ;   in Loop: Header=BB40_4 Depth=1
	v_mov_b32_e32 v13, 0
	s_and_saveexec_b32 s30, s3
	s_cbranch_execz .LBB40_8
; %bb.7:                                ;   in Loop: Header=BB40_4 Depth=1
	s_add_nc_u64 s[18:19], s[22:23], s[18:19]
	s_load_b64 s[18:19], s[18:19], 0x0
	s_wait_kmcnt 0x0
	s_add_nc_u64 s[18:19], s[18:19], s[8:9]
	s_wait_alu 0xfffe
	v_add_co_u32 v13, vcc_lo, s18, v6
	s_wait_alu 0xfffd
	v_add_co_ci_u32_e64 v14, null, s19, v7, vcc_lo
	flat_load_b32 v13, v[13:14]
.LBB40_8:                               ;   in Loop: Header=BB40_4 Depth=1
	s_or_b32 exec_lo, exec_lo, s30
	s_wait_loadcnt_dscnt 0x0
	ds_store_b32 v11, v13
.LBB40_9:                               ;   in Loop: Header=BB40_4 Depth=1
	s_or_b32 exec_lo, exec_lo, s29
	s_and_saveexec_b32 s18, s1
	s_cbranch_execz .LBB40_13
; %bb.10:                               ;   in Loop: Header=BB40_4 Depth=1
	v_mov_b32_e32 v13, 0
	s_and_saveexec_b32 s19, s4
	s_cbranch_execz .LBB40_12
; %bb.11:                               ;   in Loop: Header=BB40_4 Depth=1
	s_wait_kmcnt 0x0
	s_add_nc_u64 s[16:17], s[16:17], s[10:11]
	s_wait_alu 0xfffe
	v_add_co_u32 v13, vcc_lo, s16, v8
	s_wait_alu 0xfffd
	v_add_co_ci_u32_e64 v14, null, s17, v9, vcc_lo
	flat_load_b32 v13, v[13:14]
.LBB40_12:                              ;   in Loop: Header=BB40_4 Depth=1
	s_wait_alu 0xfffe
	s_or_b32 exec_lo, exec_lo, s19
	s_wait_loadcnt_dscnt 0x0
	ds_store_b32 v12, v13
.LBB40_13:                              ;   in Loop: Header=BB40_4 Depth=1
	s_wait_alu 0xfffe
	s_or_b32 exec_lo, exec_lo, s18
	s_wait_dscnt 0x0
	s_barrier_signal -1
	s_barrier_wait -1
	global_inv scope:SCOPE_SE
	s_wait_kmcnt 0x0
	s_and_saveexec_b32 s16, s3
	s_cbranch_execz .LBB40_2
; %bb.14:                               ;   in Loop: Header=BB40_4 Depth=1
	ds_load_b32 v13, v11
	s_add_nc_u64 s[14:15], s[14:15], s[12:13]
	s_wait_alu 0xfffe
	v_add_co_u32 v14, vcc_lo, s14, v0
	s_wait_alu 0xfffd
	v_add_co_ci_u32_e64 v15, null, s15, v1, vcc_lo
	s_wait_dscnt 0x0
	v_mul_f32_e32 v13, s6, v13
	s_and_saveexec_b32 s14, s2
	s_cbranch_execz .LBB40_16
; %bb.15:                               ;   in Loop: Header=BB40_4 Depth=1
	v_add_co_u32 v16, vcc_lo, v14, v2
	s_wait_alu 0xfffd
	v_add_co_ci_u32_e64 v17, null, v15, v3, vcc_lo
	ds_load_b32 v19, v10
	flat_load_b32 v18, v[16:17]
	s_wait_loadcnt_dscnt 0x0
	v_fmac_f32_e32 v18, v13, v19
	flat_store_b32 v[16:17], v18
.LBB40_16:                              ;   in Loop: Header=BB40_4 Depth=1
	s_wait_alu 0xfffe
	s_or_b32 exec_lo, exec_lo, s14
	s_delay_alu instid0(SALU_CYCLE_1)
	s_and_b32 exec_lo, exec_lo, s5
	s_cbranch_execz .LBB40_2
; %bb.17:                               ;   in Loop: Header=BB40_4 Depth=1
	v_add_co_u32 v14, vcc_lo, v14, v4
	s_wait_alu 0xfffd
	v_add_co_ci_u32_e64 v15, null, v15, v5, vcc_lo
	ds_load_b32 v17, v10 offset:4
	flat_load_b32 v16, v[14:15]
	s_wait_loadcnt_dscnt 0x0
	v_fmac_f32_e32 v16, v13, v17
	flat_store_b32 v[14:15], v16
	s_branch .LBB40_2
.LBB40_18:
	s_endpgm
	.section	.rodata,"a",@progbits
	.p2align	6, 0x0
	.amdhsa_kernel _ZL18rocblas_ger_kernelILi32ELi32ELi2ELb0EffPKPKfPKPfEviiT4_lT5_lllS8_lllT6_lmli
		.amdhsa_group_segment_fixed_size 384
		.amdhsa_private_segment_fixed_size 0
		.amdhsa_kernarg_size 124
		.amdhsa_user_sgpr_count 2
		.amdhsa_user_sgpr_dispatch_ptr 0
		.amdhsa_user_sgpr_queue_ptr 0
		.amdhsa_user_sgpr_kernarg_segment_ptr 1
		.amdhsa_user_sgpr_dispatch_id 0
		.amdhsa_user_sgpr_private_segment_size 0
		.amdhsa_wavefront_size32 1
		.amdhsa_uses_dynamic_stack 0
		.amdhsa_enable_private_segment 0
		.amdhsa_system_sgpr_workgroup_id_x 1
		.amdhsa_system_sgpr_workgroup_id_y 0
		.amdhsa_system_sgpr_workgroup_id_z 1
		.amdhsa_system_sgpr_workgroup_info 0
		.amdhsa_system_vgpr_workitem_id 1
		.amdhsa_next_free_vgpr 22
		.amdhsa_next_free_sgpr 32
		.amdhsa_reserve_vcc 1
		.amdhsa_float_round_mode_32 0
		.amdhsa_float_round_mode_16_64 0
		.amdhsa_float_denorm_mode_32 3
		.amdhsa_float_denorm_mode_16_64 3
		.amdhsa_fp16_overflow 0
		.amdhsa_workgroup_processor_mode 1
		.amdhsa_memory_ordered 1
		.amdhsa_forward_progress 1
		.amdhsa_inst_pref_size 9
		.amdhsa_round_robin_scheduling 0
		.amdhsa_exception_fp_ieee_invalid_op 0
		.amdhsa_exception_fp_denorm_src 0
		.amdhsa_exception_fp_ieee_div_zero 0
		.amdhsa_exception_fp_ieee_overflow 0
		.amdhsa_exception_fp_ieee_underflow 0
		.amdhsa_exception_fp_ieee_inexact 0
		.amdhsa_exception_int_div_zero 0
	.end_amdhsa_kernel
	.section	.text._ZL18rocblas_ger_kernelILi32ELi32ELi2ELb0EffPKPKfPKPfEviiT4_lT5_lllS8_lllT6_lmli,"axG",@progbits,_ZL18rocblas_ger_kernelILi32ELi32ELi2ELb0EffPKPKfPKPfEviiT4_lT5_lllS8_lllT6_lmli,comdat
.Lfunc_end40:
	.size	_ZL18rocblas_ger_kernelILi32ELi32ELi2ELb0EffPKPKfPKPfEviiT4_lT5_lllS8_lllT6_lmli, .Lfunc_end40-_ZL18rocblas_ger_kernelILi32ELi32ELi2ELb0EffPKPKfPKPfEviiT4_lT5_lllS8_lllT6_lmli
                                        ; -- End function
	.set _ZL18rocblas_ger_kernelILi32ELi32ELi2ELb0EffPKPKfPKPfEviiT4_lT5_lllS8_lllT6_lmli.num_vgpr, 22
	.set _ZL18rocblas_ger_kernelILi32ELi32ELi2ELb0EffPKPKfPKPfEviiT4_lT5_lllS8_lllT6_lmli.num_agpr, 0
	.set _ZL18rocblas_ger_kernelILi32ELi32ELi2ELb0EffPKPKfPKPfEviiT4_lT5_lllS8_lllT6_lmli.numbered_sgpr, 32
	.set _ZL18rocblas_ger_kernelILi32ELi32ELi2ELb0EffPKPKfPKPfEviiT4_lT5_lllS8_lllT6_lmli.num_named_barrier, 0
	.set _ZL18rocblas_ger_kernelILi32ELi32ELi2ELb0EffPKPKfPKPfEviiT4_lT5_lllS8_lllT6_lmli.private_seg_size, 0
	.set _ZL18rocblas_ger_kernelILi32ELi32ELi2ELb0EffPKPKfPKPfEviiT4_lT5_lllS8_lllT6_lmli.uses_vcc, 1
	.set _ZL18rocblas_ger_kernelILi32ELi32ELi2ELb0EffPKPKfPKPfEviiT4_lT5_lllS8_lllT6_lmli.uses_flat_scratch, 0
	.set _ZL18rocblas_ger_kernelILi32ELi32ELi2ELb0EffPKPKfPKPfEviiT4_lT5_lllS8_lllT6_lmli.has_dyn_sized_stack, 0
	.set _ZL18rocblas_ger_kernelILi32ELi32ELi2ELb0EffPKPKfPKPfEviiT4_lT5_lllS8_lllT6_lmli.has_recursion, 0
	.set _ZL18rocblas_ger_kernelILi32ELi32ELi2ELb0EffPKPKfPKPfEviiT4_lT5_lllS8_lllT6_lmli.has_indirect_call, 0
	.section	.AMDGPU.csdata,"",@progbits
; Kernel info:
; codeLenInByte = 1036
; TotalNumSgprs: 34
; NumVgprs: 22
; ScratchSize: 0
; MemoryBound: 0
; FloatMode: 240
; IeeeMode: 1
; LDSByteSize: 384 bytes/workgroup (compile time only)
; SGPRBlocks: 0
; VGPRBlocks: 2
; NumSGPRsForWavesPerEU: 34
; NumVGPRsForWavesPerEU: 22
; Occupancy: 16
; WaveLimiterHint : 1
; COMPUTE_PGM_RSRC2:SCRATCH_EN: 0
; COMPUTE_PGM_RSRC2:USER_SGPR: 2
; COMPUTE_PGM_RSRC2:TRAP_HANDLER: 0
; COMPUTE_PGM_RSRC2:TGID_X_EN: 1
; COMPUTE_PGM_RSRC2:TGID_Y_EN: 0
; COMPUTE_PGM_RSRC2:TGID_Z_EN: 1
; COMPUTE_PGM_RSRC2:TIDIG_COMP_CNT: 1
	.section	.text._ZL34rocblas_ger_double_buffered_kernelILb0ELi64ELi16ELi2Ed24rocblas_internal_val_ptrIdEPKPKdPKPdEvbiiT4_lT5_lllSA_lllT6_lmli,"axG",@progbits,_ZL34rocblas_ger_double_buffered_kernelILb0ELi64ELi16ELi2Ed24rocblas_internal_val_ptrIdEPKPKdPKPdEvbiiT4_lT5_lllSA_lllT6_lmli,comdat
	.globl	_ZL34rocblas_ger_double_buffered_kernelILb0ELi64ELi16ELi2Ed24rocblas_internal_val_ptrIdEPKPKdPKPdEvbiiT4_lT5_lllSA_lllT6_lmli ; -- Begin function _ZL34rocblas_ger_double_buffered_kernelILb0ELi64ELi16ELi2Ed24rocblas_internal_val_ptrIdEPKPKdPKPdEvbiiT4_lT5_lllSA_lllT6_lmli
	.p2align	8
	.type	_ZL34rocblas_ger_double_buffered_kernelILb0ELi64ELi16ELi2Ed24rocblas_internal_val_ptrIdEPKPKdPKPdEvbiiT4_lT5_lllSA_lllT6_lmli,@function
_ZL34rocblas_ger_double_buffered_kernelILb0ELi64ELi16ELi2Ed24rocblas_internal_val_ptrIdEPKPKdPKPdEvbiiT4_lT5_lllSA_lllT6_lmli: ; @_ZL34rocblas_ger_double_buffered_kernelILb0ELi64ELi16ELi2Ed24rocblas_internal_val_ptrIdEPKPKdPKPdEvbiiT4_lT5_lllSA_lllT6_lmli
; %bb.0:
	s_load_b32 s28, s[0:1], 0x80
	s_lshr_b32 s16, ttmp7, 16
	s_wait_kmcnt 0x0
	s_cmp_ge_u32 s16, s28
	s_cbranch_scc1 .LBB41_7
; %bb.1:
	v_lshrrev_b32_e32 v1, 4, v0
	v_and_b32_e32 v2, 0x3ff, v0
	s_clause 0x6
	s_load_b128 s[4:7], s[0:1], 0x68
	s_load_b64 s[18:19], s[0:1], 0x60
	s_load_b64 s[20:21], s[0:1], 0x20
	;; [unrolled: 1-line block ×3, first 2 shown]
	s_load_b128 s[8:11], s[0:1], 0x48
	s_load_b32 s24, s[0:1], 0x0
	s_load_b128 s[12:15], s[0:1], 0x28
	v_and_b32_e32 v1, 0xffc0, v1
	s_load_b128 s[0:3], s[0:1], 0x10
	s_mov_b32 s17, 0
	s_delay_alu instid0(SALU_CYCLE_1) | instskip(NEXT) | instid1(VALU_DEP_1)
	s_mov_b32 s25, s17
	v_add_nc_u32_e32 v1, v1, v2
	s_delay_alu instid0(VALU_DEP_1) | instskip(NEXT) | instid1(VALU_DEP_1)
	v_lshrrev_b32_e32 v4, 4, v1
	v_and_b32_e32 v14, 0x1ffe, v4
	v_or_b32_e32 v15, 1, v4
	s_wait_kmcnt 0x0
	s_bitcmp1_b32 s24, 0
	s_delay_alu instid0(VALU_DEP_2)
	v_mad_co_u64_u32 v[4:5], null, s6, v14, 0
	v_mad_co_u64_u32 v[6:7], null, s10, v14, 0
	;; [unrolled: 1-line block ×3, first 2 shown]
	v_and_b32_e32 v16, 31, v0
	s_cselect_b32 s29, -1, 0
	s_lshl_b32 s26, ttmp9, 6
	s_and_b32 s24, ttmp7, 0xffff
	s_delay_alu instid0(VALU_DEP_3) | instskip(NEXT) | instid1(VALU_DEP_3)
	v_mad_co_u64_u32 v[10:11], null, s7, v14, v[5:6]
	v_mov_b32_e32 v5, v9
	v_or_b32_e32 v13, 32, v16
	v_mad_co_u64_u32 v[0:1], null, s14, v16, 0
	s_ashr_i32 s27, s26, 31
	s_lshl_b32 s24, s24, 6
	v_mad_co_u64_u32 v[2:3], null, s14, v13, 0
	s_mul_u64 s[30:31], s[6:7], s[24:25]
	s_mul_u64 s[34:35], s[14:15], s[26:27]
	;; [unrolled: 1-line block ×3, first 2 shown]
	s_xor_b32 s29, s29, -1
	s_lshl_b64 s[4:5], s[4:5], 3
	s_lshl_b64 s[24:25], s[34:35], 3
	v_mad_co_u64_u32 v[11:12], null, s15, v16, v[1:2]
	v_mov_b32_e32 v1, v7
	v_mad_co_u64_u32 v[12:13], null, s15, v13, v[3:4]
	s_lshl_b64 s[14:15], s[30:31], 3
	s_lshl_b64 s[6:7], s[6:7], 3
	v_mad_co_u64_u32 v[13:14], null, s11, v14, v[1:2]
	v_mad_co_u64_u32 v[14:15], null, s11, v15, v[5:6]
	v_mov_b32_e32 v5, v10
	v_mov_b32_e32 v1, v11
	v_dual_mov_b32 v3, v12 :: v_dual_lshlrev_b32 v12, 3, v16
	v_mov_b32_e32 v7, v13
	s_delay_alu instid0(VALU_DEP_4)
	v_lshlrev_b64_e32 v[4:5], 3, v[4:5]
	v_mov_b32_e32 v9, v14
	v_lshlrev_b64_e32 v[0:1], 3, v[0:1]
	v_lshlrev_b64_e32 v[2:3], 3, v[2:3]
	;; [unrolled: 1-line block ×3, first 2 shown]
	s_lshl_b64 s[10:11], s[12:13], 3
	v_lshlrev_b64_e32 v[8:9], 3, v[8:9]
	s_lshl_b64 s[12:13], s[26:27], 3
	s_lshl_b64 s[8:9], s[8:9], 3
	;; [unrolled: 1-line block ×3, first 2 shown]
	s_branch .LBB41_3
.LBB41_2:                               ;   in Loop: Header=BB41_3 Depth=1
	s_wait_alu 0xfffe
	s_or_b32 exec_lo, exec_lo, s30
	s_add_co_i32 s16, s16, 0x10000
	s_delay_alu instid0(SALU_CYCLE_1)
	s_cmp_lt_u32 s16, s28
	s_cbranch_scc0 .LBB41_7
.LBB41_3:                               ; =>This Inner Loop Header: Depth=1
	v_dual_mov_b32 v11, s1 :: v_dual_mov_b32 v10, s0
	s_and_not1_b32 vcc_lo, exec_lo, s29
	s_wait_alu 0xfffe
	s_cbranch_vccnz .LBB41_5
; %bb.4:                                ;   in Loop: Header=BB41_3 Depth=1
	s_mul_u64 s[30:31], s[2:3], s[16:17]
	s_wait_alu 0xfffe
	s_lshl_b64 s[30:31], s[30:31], 3
	s_wait_alu 0xfffe
	s_add_nc_u64 s[30:31], s[0:1], s[30:31]
	s_wait_alu 0xfffe
	v_dual_mov_b32 v10, s30 :: v_dual_mov_b32 v11, s31
	flat_load_b64 v[10:11], v[10:11]
.LBB41_5:                               ;   in Loop: Header=BB41_3 Depth=1
	s_mov_b32 s30, exec_lo
	s_wait_loadcnt_dscnt 0x0
	v_cmpx_neq_f64_e32 0, v[10:11]
	s_cbranch_execz .LBB41_2
; %bb.6:                                ;   in Loop: Header=BB41_3 Depth=1
	s_lshl_b64 s[34:35], s[16:17], 3
	s_wait_alu 0xfffe
	s_add_nc_u64 s[36:37], s[20:21], s[34:35]
	s_add_nc_u64 s[38:39], s[18:19], s[34:35]
	s_load_b64 s[36:37], s[36:37], 0x0
	s_add_nc_u64 s[34:35], s[22:23], s[34:35]
	s_load_b64 s[38:39], s[38:39], 0x0
	s_load_b64 s[34:35], s[34:35], 0x0
	s_wait_kmcnt 0x0
	s_add_nc_u64 s[36:37], s[36:37], s[10:11]
	s_wait_alu 0xfffe
	s_add_nc_u64 s[36:37], s[36:37], s[24:25]
	s_add_nc_u64 s[34:35], s[34:35], s[8:9]
	s_wait_alu 0xfffe
	v_add_co_u32 v13, vcc_lo, s36, v0
	s_wait_alu 0xfffd
	v_add_co_ci_u32_e64 v14, null, s37, v1, vcc_lo
	v_add_co_u32 v15, vcc_lo, s36, v2
	s_wait_alu 0xfffd
	v_add_co_ci_u32_e64 v16, null, s37, v3, vcc_lo
	s_clause 0x1
	flat_load_b64 v[13:14], v[13:14]
	flat_load_b64 v[15:16], v[15:16]
	s_add_nc_u64 s[36:37], s[38:39], s[4:5]
	s_add_nc_u64 s[34:35], s[34:35], s[26:27]
	s_wait_alu 0xfffe
	s_add_nc_u64 s[36:37], s[36:37], s[12:13]
	s_wait_alu 0xfffe
	;; [unrolled: 2-line block ×3, first 2 shown]
	v_add_co_u32 v19, vcc_lo, s36, v4
	s_wait_alu 0xfffd
	v_add_co_ci_u32_e64 v20, null, s37, v5, vcc_lo
	v_add_co_u32 v17, vcc_lo, s34, v6
	s_wait_alu 0xfffd
	v_add_co_ci_u32_e64 v18, null, s35, v7, vcc_lo
	;; [unrolled: 3-line block ×5, first 2 shown]
	s_clause 0x1
	flat_load_b64 v[17:18], v[17:18]
	flat_load_b64 v[21:22], v[21:22]
	s_clause 0x3
	flat_load_b64 v[25:26], v[19:20]
	flat_load_b64 v[27:28], v[23:24]
	flat_load_b64 v[29:30], v[23:24] offset:256
	flat_load_b64 v[31:32], v[19:20] offset:256
	s_wait_loadcnt_dscnt 0x707
	v_mul_f64_e32 v[13:14], v[10:11], v[13:14]
	s_wait_loadcnt_dscnt 0x606
	v_mul_f64_e32 v[10:11], v[10:11], v[15:16]
	s_wait_loadcnt_dscnt 0x303
	s_delay_alu instid0(VALU_DEP_2) | instskip(SKIP_3) | instid1(VALU_DEP_3)
	v_fma_f64 v[15:16], v[13:14], v[17:18], v[25:26]
	s_wait_loadcnt_dscnt 0x202
	v_fma_f64 v[13:14], v[13:14], v[21:22], v[27:28]
	s_wait_loadcnt_dscnt 0x0
	v_fma_f64 v[17:18], v[10:11], v[17:18], v[31:32]
	v_fma_f64 v[10:11], v[10:11], v[21:22], v[29:30]
	s_clause 0x3
	flat_store_b64 v[19:20], v[15:16]
	flat_store_b64 v[23:24], v[13:14]
	flat_store_b64 v[19:20], v[17:18] offset:256
	flat_store_b64 v[23:24], v[10:11] offset:256
	s_branch .LBB41_2
.LBB41_7:
	s_endpgm
	.section	.rodata,"a",@progbits
	.p2align	6, 0x0
	.amdhsa_kernel _ZL34rocblas_ger_double_buffered_kernelILb0ELi64ELi16ELi2Ed24rocblas_internal_val_ptrIdEPKPKdPKPdEvbiiT4_lT5_lllSA_lllT6_lmli
		.amdhsa_group_segment_fixed_size 0
		.amdhsa_private_segment_fixed_size 0
		.amdhsa_kernarg_size 132
		.amdhsa_user_sgpr_count 2
		.amdhsa_user_sgpr_dispatch_ptr 0
		.amdhsa_user_sgpr_queue_ptr 0
		.amdhsa_user_sgpr_kernarg_segment_ptr 1
		.amdhsa_user_sgpr_dispatch_id 0
		.amdhsa_user_sgpr_private_segment_size 0
		.amdhsa_wavefront_size32 1
		.amdhsa_uses_dynamic_stack 0
		.amdhsa_enable_private_segment 0
		.amdhsa_system_sgpr_workgroup_id_x 1
		.amdhsa_system_sgpr_workgroup_id_y 1
		.amdhsa_system_sgpr_workgroup_id_z 1
		.amdhsa_system_sgpr_workgroup_info 0
		.amdhsa_system_vgpr_workitem_id 1
		.amdhsa_next_free_vgpr 33
		.amdhsa_next_free_sgpr 40
		.amdhsa_reserve_vcc 1
		.amdhsa_float_round_mode_32 0
		.amdhsa_float_round_mode_16_64 0
		.amdhsa_float_denorm_mode_32 3
		.amdhsa_float_denorm_mode_16_64 3
		.amdhsa_fp16_overflow 0
		.amdhsa_workgroup_processor_mode 1
		.amdhsa_memory_ordered 1
		.amdhsa_forward_progress 1
		.amdhsa_inst_pref_size 8
		.amdhsa_round_robin_scheduling 0
		.amdhsa_exception_fp_ieee_invalid_op 0
		.amdhsa_exception_fp_denorm_src 0
		.amdhsa_exception_fp_ieee_div_zero 0
		.amdhsa_exception_fp_ieee_overflow 0
		.amdhsa_exception_fp_ieee_underflow 0
		.amdhsa_exception_fp_ieee_inexact 0
		.amdhsa_exception_int_div_zero 0
	.end_amdhsa_kernel
	.section	.text._ZL34rocblas_ger_double_buffered_kernelILb0ELi64ELi16ELi2Ed24rocblas_internal_val_ptrIdEPKPKdPKPdEvbiiT4_lT5_lllSA_lllT6_lmli,"axG",@progbits,_ZL34rocblas_ger_double_buffered_kernelILb0ELi64ELi16ELi2Ed24rocblas_internal_val_ptrIdEPKPKdPKPdEvbiiT4_lT5_lllSA_lllT6_lmli,comdat
.Lfunc_end41:
	.size	_ZL34rocblas_ger_double_buffered_kernelILb0ELi64ELi16ELi2Ed24rocblas_internal_val_ptrIdEPKPKdPKPdEvbiiT4_lT5_lllSA_lllT6_lmli, .Lfunc_end41-_ZL34rocblas_ger_double_buffered_kernelILb0ELi64ELi16ELi2Ed24rocblas_internal_val_ptrIdEPKPKdPKPdEvbiiT4_lT5_lllSA_lllT6_lmli
                                        ; -- End function
	.set _ZL34rocblas_ger_double_buffered_kernelILb0ELi64ELi16ELi2Ed24rocblas_internal_val_ptrIdEPKPKdPKPdEvbiiT4_lT5_lllSA_lllT6_lmli.num_vgpr, 33
	.set _ZL34rocblas_ger_double_buffered_kernelILb0ELi64ELi16ELi2Ed24rocblas_internal_val_ptrIdEPKPKdPKPdEvbiiT4_lT5_lllSA_lllT6_lmli.num_agpr, 0
	.set _ZL34rocblas_ger_double_buffered_kernelILb0ELi64ELi16ELi2Ed24rocblas_internal_val_ptrIdEPKPKdPKPdEvbiiT4_lT5_lllSA_lllT6_lmli.numbered_sgpr, 40
	.set _ZL34rocblas_ger_double_buffered_kernelILb0ELi64ELi16ELi2Ed24rocblas_internal_val_ptrIdEPKPKdPKPdEvbiiT4_lT5_lllSA_lllT6_lmli.num_named_barrier, 0
	.set _ZL34rocblas_ger_double_buffered_kernelILb0ELi64ELi16ELi2Ed24rocblas_internal_val_ptrIdEPKPKdPKPdEvbiiT4_lT5_lllSA_lllT6_lmli.private_seg_size, 0
	.set _ZL34rocblas_ger_double_buffered_kernelILb0ELi64ELi16ELi2Ed24rocblas_internal_val_ptrIdEPKPKdPKPdEvbiiT4_lT5_lllSA_lllT6_lmli.uses_vcc, 1
	.set _ZL34rocblas_ger_double_buffered_kernelILb0ELi64ELi16ELi2Ed24rocblas_internal_val_ptrIdEPKPKdPKPdEvbiiT4_lT5_lllSA_lllT6_lmli.uses_flat_scratch, 1
	.set _ZL34rocblas_ger_double_buffered_kernelILb0ELi64ELi16ELi2Ed24rocblas_internal_val_ptrIdEPKPKdPKPdEvbiiT4_lT5_lllSA_lllT6_lmli.has_dyn_sized_stack, 0
	.set _ZL34rocblas_ger_double_buffered_kernelILb0ELi64ELi16ELi2Ed24rocblas_internal_val_ptrIdEPKPKdPKPdEvbiiT4_lT5_lllSA_lllT6_lmli.has_recursion, 0
	.set _ZL34rocblas_ger_double_buffered_kernelILb0ELi64ELi16ELi2Ed24rocblas_internal_val_ptrIdEPKPKdPKPdEvbiiT4_lT5_lllSA_lllT6_lmli.has_indirect_call, 0
	.section	.AMDGPU.csdata,"",@progbits
; Kernel info:
; codeLenInByte = 960
; TotalNumSgprs: 42
; NumVgprs: 33
; ScratchSize: 0
; MemoryBound: 0
; FloatMode: 240
; IeeeMode: 1
; LDSByteSize: 0 bytes/workgroup (compile time only)
; SGPRBlocks: 0
; VGPRBlocks: 4
; NumSGPRsForWavesPerEU: 42
; NumVGPRsForWavesPerEU: 33
; Occupancy: 16
; WaveLimiterHint : 1
; COMPUTE_PGM_RSRC2:SCRATCH_EN: 0
; COMPUTE_PGM_RSRC2:USER_SGPR: 2
; COMPUTE_PGM_RSRC2:TRAP_HANDLER: 0
; COMPUTE_PGM_RSRC2:TGID_X_EN: 1
; COMPUTE_PGM_RSRC2:TGID_Y_EN: 1
; COMPUTE_PGM_RSRC2:TGID_Z_EN: 1
; COMPUTE_PGM_RSRC2:TIDIG_COMP_CNT: 1
	.section	.text._ZL26rocblas_sger_gfx942_kernelILi256EdPKdPKS1_PKPdEviiT1_lT2_lllS8_lllT3_lll,"axG",@progbits,_ZL26rocblas_sger_gfx942_kernelILi256EdPKdPKS1_PKPdEviiT1_lT2_lllS8_lllT3_lll,comdat
	.globl	_ZL26rocblas_sger_gfx942_kernelILi256EdPKdPKS1_PKPdEviiT1_lT2_lllS8_lllT3_lll ; -- Begin function _ZL26rocblas_sger_gfx942_kernelILi256EdPKdPKS1_PKPdEviiT1_lT2_lllS8_lllT3_lll
	.p2align	8
	.type	_ZL26rocblas_sger_gfx942_kernelILi256EdPKdPKS1_PKPdEviiT1_lT2_lllS8_lllT3_lll,@function
_ZL26rocblas_sger_gfx942_kernelILi256EdPKdPKS1_PKPdEviiT1_lT2_lllS8_lllT3_lll: ; @_ZL26rocblas_sger_gfx942_kernelILi256EdPKdPKS1_PKPdEviiT1_lT2_lllS8_lllT3_lll
; %bb.0:
	s_endpgm
	.section	.rodata,"a",@progbits
	.p2align	6, 0x0
	.amdhsa_kernel _ZL26rocblas_sger_gfx942_kernelILi256EdPKdPKS1_PKPdEviiT1_lT2_lllS8_lllT3_lll
		.amdhsa_group_segment_fixed_size 0
		.amdhsa_private_segment_fixed_size 0
		.amdhsa_kernarg_size 120
		.amdhsa_user_sgpr_count 2
		.amdhsa_user_sgpr_dispatch_ptr 0
		.amdhsa_user_sgpr_queue_ptr 0
		.amdhsa_user_sgpr_kernarg_segment_ptr 1
		.amdhsa_user_sgpr_dispatch_id 0
		.amdhsa_user_sgpr_private_segment_size 0
		.amdhsa_wavefront_size32 1
		.amdhsa_uses_dynamic_stack 0
		.amdhsa_enable_private_segment 0
		.amdhsa_system_sgpr_workgroup_id_x 1
		.amdhsa_system_sgpr_workgroup_id_y 0
		.amdhsa_system_sgpr_workgroup_id_z 0
		.amdhsa_system_sgpr_workgroup_info 0
		.amdhsa_system_vgpr_workitem_id 0
		.amdhsa_next_free_vgpr 1
		.amdhsa_next_free_sgpr 1
		.amdhsa_reserve_vcc 0
		.amdhsa_float_round_mode_32 0
		.amdhsa_float_round_mode_16_64 0
		.amdhsa_float_denorm_mode_32 3
		.amdhsa_float_denorm_mode_16_64 3
		.amdhsa_fp16_overflow 0
		.amdhsa_workgroup_processor_mode 1
		.amdhsa_memory_ordered 1
		.amdhsa_forward_progress 1
		.amdhsa_inst_pref_size 1
		.amdhsa_round_robin_scheduling 0
		.amdhsa_exception_fp_ieee_invalid_op 0
		.amdhsa_exception_fp_denorm_src 0
		.amdhsa_exception_fp_ieee_div_zero 0
		.amdhsa_exception_fp_ieee_overflow 0
		.amdhsa_exception_fp_ieee_underflow 0
		.amdhsa_exception_fp_ieee_inexact 0
		.amdhsa_exception_int_div_zero 0
	.end_amdhsa_kernel
	.section	.text._ZL26rocblas_sger_gfx942_kernelILi256EdPKdPKS1_PKPdEviiT1_lT2_lllS8_lllT3_lll,"axG",@progbits,_ZL26rocblas_sger_gfx942_kernelILi256EdPKdPKS1_PKPdEviiT1_lT2_lllS8_lllT3_lll,comdat
.Lfunc_end42:
	.size	_ZL26rocblas_sger_gfx942_kernelILi256EdPKdPKS1_PKPdEviiT1_lT2_lllS8_lllT3_lll, .Lfunc_end42-_ZL26rocblas_sger_gfx942_kernelILi256EdPKdPKS1_PKPdEviiT1_lT2_lllS8_lllT3_lll
                                        ; -- End function
	.set _ZL26rocblas_sger_gfx942_kernelILi256EdPKdPKS1_PKPdEviiT1_lT2_lllS8_lllT3_lll.num_vgpr, 0
	.set _ZL26rocblas_sger_gfx942_kernelILi256EdPKdPKS1_PKPdEviiT1_lT2_lllS8_lllT3_lll.num_agpr, 0
	.set _ZL26rocblas_sger_gfx942_kernelILi256EdPKdPKS1_PKPdEviiT1_lT2_lllS8_lllT3_lll.numbered_sgpr, 0
	.set _ZL26rocblas_sger_gfx942_kernelILi256EdPKdPKS1_PKPdEviiT1_lT2_lllS8_lllT3_lll.num_named_barrier, 0
	.set _ZL26rocblas_sger_gfx942_kernelILi256EdPKdPKS1_PKPdEviiT1_lT2_lllS8_lllT3_lll.private_seg_size, 0
	.set _ZL26rocblas_sger_gfx942_kernelILi256EdPKdPKS1_PKPdEviiT1_lT2_lllS8_lllT3_lll.uses_vcc, 0
	.set _ZL26rocblas_sger_gfx942_kernelILi256EdPKdPKS1_PKPdEviiT1_lT2_lllS8_lllT3_lll.uses_flat_scratch, 0
	.set _ZL26rocblas_sger_gfx942_kernelILi256EdPKdPKS1_PKPdEviiT1_lT2_lllS8_lllT3_lll.has_dyn_sized_stack, 0
	.set _ZL26rocblas_sger_gfx942_kernelILi256EdPKdPKS1_PKPdEviiT1_lT2_lllS8_lllT3_lll.has_recursion, 0
	.set _ZL26rocblas_sger_gfx942_kernelILi256EdPKdPKS1_PKPdEviiT1_lT2_lllS8_lllT3_lll.has_indirect_call, 0
	.section	.AMDGPU.csdata,"",@progbits
; Kernel info:
; codeLenInByte = 4
; TotalNumSgprs: 0
; NumVgprs: 0
; ScratchSize: 0
; MemoryBound: 0
; FloatMode: 240
; IeeeMode: 1
; LDSByteSize: 0 bytes/workgroup (compile time only)
; SGPRBlocks: 0
; VGPRBlocks: 0
; NumSGPRsForWavesPerEU: 1
; NumVGPRsForWavesPerEU: 1
; Occupancy: 16
; WaveLimiterHint : 0
; COMPUTE_PGM_RSRC2:SCRATCH_EN: 0
; COMPUTE_PGM_RSRC2:USER_SGPR: 2
; COMPUTE_PGM_RSRC2:TRAP_HANDLER: 0
; COMPUTE_PGM_RSRC2:TGID_X_EN: 1
; COMPUTE_PGM_RSRC2:TGID_Y_EN: 0
; COMPUTE_PGM_RSRC2:TGID_Z_EN: 0
; COMPUTE_PGM_RSRC2:TIDIG_COMP_CNT: 0
	.section	.text._ZL26rocblas_sger_gfx942_kernelILi256EddPKPKdPKPdEviiT1_lT2_lllS8_lllT3_lll,"axG",@progbits,_ZL26rocblas_sger_gfx942_kernelILi256EddPKPKdPKPdEviiT1_lT2_lllS8_lllT3_lll,comdat
	.globl	_ZL26rocblas_sger_gfx942_kernelILi256EddPKPKdPKPdEviiT1_lT2_lllS8_lllT3_lll ; -- Begin function _ZL26rocblas_sger_gfx942_kernelILi256EddPKPKdPKPdEviiT1_lT2_lllS8_lllT3_lll
	.p2align	8
	.type	_ZL26rocblas_sger_gfx942_kernelILi256EddPKPKdPKPdEviiT1_lT2_lllS8_lllT3_lll,@function
_ZL26rocblas_sger_gfx942_kernelILi256EddPKPKdPKPdEviiT1_lT2_lllS8_lllT3_lll: ; @_ZL26rocblas_sger_gfx942_kernelILi256EddPKPKdPKPdEviiT1_lT2_lllS8_lllT3_lll
; %bb.0:
	s_endpgm
	.section	.rodata,"a",@progbits
	.p2align	6, 0x0
	.amdhsa_kernel _ZL26rocblas_sger_gfx942_kernelILi256EddPKPKdPKPdEviiT1_lT2_lllS8_lllT3_lll
		.amdhsa_group_segment_fixed_size 0
		.amdhsa_private_segment_fixed_size 0
		.amdhsa_kernarg_size 120
		.amdhsa_user_sgpr_count 2
		.amdhsa_user_sgpr_dispatch_ptr 0
		.amdhsa_user_sgpr_queue_ptr 0
		.amdhsa_user_sgpr_kernarg_segment_ptr 1
		.amdhsa_user_sgpr_dispatch_id 0
		.amdhsa_user_sgpr_private_segment_size 0
		.amdhsa_wavefront_size32 1
		.amdhsa_uses_dynamic_stack 0
		.amdhsa_enable_private_segment 0
		.amdhsa_system_sgpr_workgroup_id_x 1
		.amdhsa_system_sgpr_workgroup_id_y 0
		.amdhsa_system_sgpr_workgroup_id_z 0
		.amdhsa_system_sgpr_workgroup_info 0
		.amdhsa_system_vgpr_workitem_id 0
		.amdhsa_next_free_vgpr 1
		.amdhsa_next_free_sgpr 1
		.amdhsa_reserve_vcc 0
		.amdhsa_float_round_mode_32 0
		.amdhsa_float_round_mode_16_64 0
		.amdhsa_float_denorm_mode_32 3
		.amdhsa_float_denorm_mode_16_64 3
		.amdhsa_fp16_overflow 0
		.amdhsa_workgroup_processor_mode 1
		.amdhsa_memory_ordered 1
		.amdhsa_forward_progress 1
		.amdhsa_inst_pref_size 1
		.amdhsa_round_robin_scheduling 0
		.amdhsa_exception_fp_ieee_invalid_op 0
		.amdhsa_exception_fp_denorm_src 0
		.amdhsa_exception_fp_ieee_div_zero 0
		.amdhsa_exception_fp_ieee_overflow 0
		.amdhsa_exception_fp_ieee_underflow 0
		.amdhsa_exception_fp_ieee_inexact 0
		.amdhsa_exception_int_div_zero 0
	.end_amdhsa_kernel
	.section	.text._ZL26rocblas_sger_gfx942_kernelILi256EddPKPKdPKPdEviiT1_lT2_lllS8_lllT3_lll,"axG",@progbits,_ZL26rocblas_sger_gfx942_kernelILi256EddPKPKdPKPdEviiT1_lT2_lllS8_lllT3_lll,comdat
.Lfunc_end43:
	.size	_ZL26rocblas_sger_gfx942_kernelILi256EddPKPKdPKPdEviiT1_lT2_lllS8_lllT3_lll, .Lfunc_end43-_ZL26rocblas_sger_gfx942_kernelILi256EddPKPKdPKPdEviiT1_lT2_lllS8_lllT3_lll
                                        ; -- End function
	.set _ZL26rocblas_sger_gfx942_kernelILi256EddPKPKdPKPdEviiT1_lT2_lllS8_lllT3_lll.num_vgpr, 0
	.set _ZL26rocblas_sger_gfx942_kernelILi256EddPKPKdPKPdEviiT1_lT2_lllS8_lllT3_lll.num_agpr, 0
	.set _ZL26rocblas_sger_gfx942_kernelILi256EddPKPKdPKPdEviiT1_lT2_lllS8_lllT3_lll.numbered_sgpr, 0
	.set _ZL26rocblas_sger_gfx942_kernelILi256EddPKPKdPKPdEviiT1_lT2_lllS8_lllT3_lll.num_named_barrier, 0
	.set _ZL26rocblas_sger_gfx942_kernelILi256EddPKPKdPKPdEviiT1_lT2_lllS8_lllT3_lll.private_seg_size, 0
	.set _ZL26rocblas_sger_gfx942_kernelILi256EddPKPKdPKPdEviiT1_lT2_lllS8_lllT3_lll.uses_vcc, 0
	.set _ZL26rocblas_sger_gfx942_kernelILi256EddPKPKdPKPdEviiT1_lT2_lllS8_lllT3_lll.uses_flat_scratch, 0
	.set _ZL26rocblas_sger_gfx942_kernelILi256EddPKPKdPKPdEviiT1_lT2_lllS8_lllT3_lll.has_dyn_sized_stack, 0
	.set _ZL26rocblas_sger_gfx942_kernelILi256EddPKPKdPKPdEviiT1_lT2_lllS8_lllT3_lll.has_recursion, 0
	.set _ZL26rocblas_sger_gfx942_kernelILi256EddPKPKdPKPdEviiT1_lT2_lllS8_lllT3_lll.has_indirect_call, 0
	.section	.AMDGPU.csdata,"",@progbits
; Kernel info:
; codeLenInByte = 4
; TotalNumSgprs: 0
; NumVgprs: 0
; ScratchSize: 0
; MemoryBound: 0
; FloatMode: 240
; IeeeMode: 1
; LDSByteSize: 0 bytes/workgroup (compile time only)
; SGPRBlocks: 0
; VGPRBlocks: 0
; NumSGPRsForWavesPerEU: 1
; NumVGPRsForWavesPerEU: 1
; Occupancy: 16
; WaveLimiterHint : 0
; COMPUTE_PGM_RSRC2:SCRATCH_EN: 0
; COMPUTE_PGM_RSRC2:USER_SGPR: 2
; COMPUTE_PGM_RSRC2:TRAP_HANDLER: 0
; COMPUTE_PGM_RSRC2:TGID_X_EN: 1
; COMPUTE_PGM_RSRC2:TGID_Y_EN: 0
; COMPUTE_PGM_RSRC2:TGID_Z_EN: 0
; COMPUTE_PGM_RSRC2:TIDIG_COMP_CNT: 0
	.section	.text._ZL19rocblas_sger_kernelILi1024EdPKdPKS1_PKPdEviiT1_lT2_lllS8_lllT3_lmli,"axG",@progbits,_ZL19rocblas_sger_kernelILi1024EdPKdPKS1_PKPdEviiT1_lT2_lllS8_lllT3_lmli,comdat
	.globl	_ZL19rocblas_sger_kernelILi1024EdPKdPKS1_PKPdEviiT1_lT2_lllS8_lllT3_lmli ; -- Begin function _ZL19rocblas_sger_kernelILi1024EdPKdPKS1_PKPdEviiT1_lT2_lllS8_lllT3_lmli
	.p2align	8
	.type	_ZL19rocblas_sger_kernelILi1024EdPKdPKS1_PKPdEviiT1_lT2_lllS8_lllT3_lmli,@function
_ZL19rocblas_sger_kernelILi1024EdPKdPKS1_PKPdEviiT1_lT2_lllS8_lllT3_lmli: ; @_ZL19rocblas_sger_kernelILi1024EdPKdPKS1_PKPdEviiT1_lT2_lllS8_lllT3_lmli
; %bb.0:
	s_load_b32 s24, s[0:1], 0x78
	s_lshr_b32 s2, ttmp7, 16
	s_wait_kmcnt 0x0
	s_cmp_ge_u32 s2, s24
	s_cbranch_scc1 .LBB44_8
; %bb.1:
	s_clause 0x7
	s_load_b128 s[8:11], s[0:1], 0x20
	s_load_b32 s25, s[0:1], 0x0
	s_load_b128 s[20:23], s[0:1], 0x60
	s_load_b128 s[28:31], s[0:1], 0x40
	s_load_b64 s[12:13], s[0:1], 0x18
	s_load_b64 s[14:15], s[0:1], 0x58
	;; [unrolled: 1-line block ×3, first 2 shown]
	s_load_b128 s[4:7], s[0:1], 0x8
	s_mov_b32 s18, ttmp9
	s_ashr_i32 s19, ttmp9, 31
	s_mov_b32 s3, 0
	s_wait_kmcnt 0x0
	v_cmp_gt_i32_e64 s0, s25, v0
	v_mad_co_u64_u32 v[1:2], null, s10, v0, 0
	s_mul_u64 s[22:23], s[22:23], s[18:19]
	s_mul_u64 s[26:27], s[30:31], s[18:19]
	s_lshl_b64 s[18:19], s[8:9], 3
	s_lshl_b64 s[8:9], s[10:11], 13
	v_mad_co_u64_u32 v[2:3], null, s11, v0, v[2:3]
	v_cndmask_b32_e64 v3, 0, v0, s0
	v_mov_b32_e32 v7, 0
	s_lshl_b64 s[10:11], s[28:29], 3
	s_delay_alu instid0(VALU_DEP_2) | instskip(NEXT) | instid1(VALU_DEP_4)
	v_lshlrev_b32_e32 v10, 3, v3
	v_lshlrev_b64_e32 v[1:2], 3, v[1:2]
	s_delay_alu instid0(VALU_DEP_1) | instskip(NEXT) | instid1(VALU_DEP_1)
	v_add_co_u32 v8, vcc_lo, v1, s18
	v_add_co_ci_u32_e64 v9, null, s19, v2, vcc_lo
	s_lshl_b64 s[18:19], s[20:21], 3
	s_lshl_b64 s[20:21], s[22:23], 3
	s_lshl_b64 s[22:23], s[26:27], 3
	s_branch .LBB44_4
.LBB44_2:                               ;   in Loop: Header=BB44_4 Depth=1
	s_or_b32 exec_lo, exec_lo, s26
.LBB44_3:                               ;   in Loop: Header=BB44_4 Depth=1
	s_add_co_i32 s2, s2, 0x10000
	s_delay_alu instid0(SALU_CYCLE_1)
	s_cmp_lt_u32 s2, s24
	s_cbranch_scc0 .LBB44_8
.LBB44_4:                               ; =>This Loop Header: Depth=1
                                        ;     Child Loop BB44_7 Depth 2
	s_mul_u64 s[26:27], s[6:7], s[2:3]
	s_delay_alu instid0(SALU_CYCLE_1) | instskip(NEXT) | instid1(SALU_CYCLE_1)
	s_lshl_b64 s[26:27], s[26:27], 3
	s_add_nc_u64 s[26:27], s[4:5], s[26:27]
	global_load_b64 v[1:2], v7, s[26:27]
	s_wait_loadcnt 0x0
	v_cmp_eq_f64_e32 vcc_lo, 0, v[1:2]
	s_cbranch_vccnz .LBB44_3
; %bb.5:                                ;   in Loop: Header=BB44_4 Depth=1
	s_and_saveexec_b32 s26, s0
	s_cbranch_execz .LBB44_2
; %bb.6:                                ;   in Loop: Header=BB44_4 Depth=1
	s_lshl_b64 s[28:29], s[2:3], 3
	v_mov_b32_e32 v11, v0
	s_wait_alu 0xfffe
	s_add_nc_u64 s[30:31], s[16:17], s[28:29]
	s_mov_b32 s27, 0
	s_load_b64 s[30:31], s[30:31], 0x0
	s_wait_kmcnt 0x0
	s_add_nc_u64 s[30:31], s[30:31], s[10:11]
	s_wait_alu 0xfffe
	s_add_nc_u64 s[30:31], s[30:31], s[22:23]
	s_wait_alu 0xfffe
	v_dual_mov_b32 v3, s30 :: v_dual_mov_b32 v4, s31
	s_add_nc_u64 s[30:31], s[14:15], s[28:29]
	s_add_nc_u64 s[28:29], s[12:13], s[28:29]
	s_load_b64 s[30:31], s[30:31], 0x0
	s_load_b64 s[28:29], s[28:29], 0x0
	flat_load_b64 v[3:4], v[3:4]
	s_wait_kmcnt 0x0
	s_add_nc_u64 s[30:31], s[30:31], s[18:19]
	s_wait_loadcnt_dscnt 0x0
	v_mul_f64_e32 v[1:2], v[1:2], v[3:4]
	s_wait_alu 0xfffe
	v_add_co_u32 v3, s1, s30, v10
	s_wait_alu 0xf1ff
	v_add_co_ci_u32_e64 v4, null, s31, 0, s1
	s_delay_alu instid0(VALU_DEP_2) | instskip(SKIP_1) | instid1(VALU_DEP_2)
	v_add_co_u32 v3, vcc_lo, v3, s20
	s_wait_alu 0xfffd
	v_add_co_ci_u32_e64 v4, null, s21, v4, vcc_lo
	v_add_co_u32 v5, vcc_lo, s28, v8
	s_wait_alu 0xfffd
	v_add_co_ci_u32_e64 v6, null, s29, v9, vcc_lo
.LBB44_7:                               ;   Parent Loop BB44_4 Depth=1
                                        ; =>  This Inner Loop Header: Depth=2
	flat_load_b64 v[12:13], v[5:6]
	flat_load_b64 v[14:15], v[3:4]
	v_add_nc_u32_e32 v11, 0x400, v11
	v_add_co_u32 v5, vcc_lo, v5, s8
	s_wait_alu 0xfffd
	v_add_co_ci_u32_e64 v6, null, s9, v6, vcc_lo
	s_delay_alu instid0(VALU_DEP_3)
	v_cmp_le_i32_e32 vcc_lo, s25, v11
	s_or_b32 s27, vcc_lo, s27
	s_wait_loadcnt_dscnt 0x0
	v_fma_f64 v[12:13], v[1:2], v[12:13], v[14:15]
	flat_store_b64 v[3:4], v[12:13]
	v_add_co_u32 v3, s1, 0x2000, v3
	s_wait_alu 0xf1ff
	v_add_co_ci_u32_e64 v4, null, 0, v4, s1
	s_and_not1_b32 exec_lo, exec_lo, s27
	s_cbranch_execnz .LBB44_7
	s_branch .LBB44_2
.LBB44_8:
	s_endpgm
	.section	.rodata,"a",@progbits
	.p2align	6, 0x0
	.amdhsa_kernel _ZL19rocblas_sger_kernelILi1024EdPKdPKS1_PKPdEviiT1_lT2_lllS8_lllT3_lmli
		.amdhsa_group_segment_fixed_size 0
		.amdhsa_private_segment_fixed_size 0
		.amdhsa_kernarg_size 124
		.amdhsa_user_sgpr_count 2
		.amdhsa_user_sgpr_dispatch_ptr 0
		.amdhsa_user_sgpr_queue_ptr 0
		.amdhsa_user_sgpr_kernarg_segment_ptr 1
		.amdhsa_user_sgpr_dispatch_id 0
		.amdhsa_user_sgpr_private_segment_size 0
		.amdhsa_wavefront_size32 1
		.amdhsa_uses_dynamic_stack 0
		.amdhsa_enable_private_segment 0
		.amdhsa_system_sgpr_workgroup_id_x 1
		.amdhsa_system_sgpr_workgroup_id_y 0
		.amdhsa_system_sgpr_workgroup_id_z 1
		.amdhsa_system_sgpr_workgroup_info 0
		.amdhsa_system_vgpr_workitem_id 0
		.amdhsa_next_free_vgpr 16
		.amdhsa_next_free_sgpr 32
		.amdhsa_reserve_vcc 1
		.amdhsa_float_round_mode_32 0
		.amdhsa_float_round_mode_16_64 0
		.amdhsa_float_denorm_mode_32 3
		.amdhsa_float_denorm_mode_16_64 3
		.amdhsa_fp16_overflow 0
		.amdhsa_workgroup_processor_mode 1
		.amdhsa_memory_ordered 1
		.amdhsa_forward_progress 1
		.amdhsa_inst_pref_size 5
		.amdhsa_round_robin_scheduling 0
		.amdhsa_exception_fp_ieee_invalid_op 0
		.amdhsa_exception_fp_denorm_src 0
		.amdhsa_exception_fp_ieee_div_zero 0
		.amdhsa_exception_fp_ieee_overflow 0
		.amdhsa_exception_fp_ieee_underflow 0
		.amdhsa_exception_fp_ieee_inexact 0
		.amdhsa_exception_int_div_zero 0
	.end_amdhsa_kernel
	.section	.text._ZL19rocblas_sger_kernelILi1024EdPKdPKS1_PKPdEviiT1_lT2_lllS8_lllT3_lmli,"axG",@progbits,_ZL19rocblas_sger_kernelILi1024EdPKdPKS1_PKPdEviiT1_lT2_lllS8_lllT3_lmli,comdat
.Lfunc_end44:
	.size	_ZL19rocblas_sger_kernelILi1024EdPKdPKS1_PKPdEviiT1_lT2_lllS8_lllT3_lmli, .Lfunc_end44-_ZL19rocblas_sger_kernelILi1024EdPKdPKS1_PKPdEviiT1_lT2_lllS8_lllT3_lmli
                                        ; -- End function
	.set _ZL19rocblas_sger_kernelILi1024EdPKdPKS1_PKPdEviiT1_lT2_lllS8_lllT3_lmli.num_vgpr, 16
	.set _ZL19rocblas_sger_kernelILi1024EdPKdPKS1_PKPdEviiT1_lT2_lllS8_lllT3_lmli.num_agpr, 0
	.set _ZL19rocblas_sger_kernelILi1024EdPKdPKS1_PKPdEviiT1_lT2_lllS8_lllT3_lmli.numbered_sgpr, 32
	.set _ZL19rocblas_sger_kernelILi1024EdPKdPKS1_PKPdEviiT1_lT2_lllS8_lllT3_lmli.num_named_barrier, 0
	.set _ZL19rocblas_sger_kernelILi1024EdPKdPKS1_PKPdEviiT1_lT2_lllS8_lllT3_lmli.private_seg_size, 0
	.set _ZL19rocblas_sger_kernelILi1024EdPKdPKS1_PKPdEviiT1_lT2_lllS8_lllT3_lmli.uses_vcc, 1
	.set _ZL19rocblas_sger_kernelILi1024EdPKdPKS1_PKPdEviiT1_lT2_lllS8_lllT3_lmli.uses_flat_scratch, 0
	.set _ZL19rocblas_sger_kernelILi1024EdPKdPKS1_PKPdEviiT1_lT2_lllS8_lllT3_lmli.has_dyn_sized_stack, 0
	.set _ZL19rocblas_sger_kernelILi1024EdPKdPKS1_PKPdEviiT1_lT2_lllS8_lllT3_lmli.has_recursion, 0
	.set _ZL19rocblas_sger_kernelILi1024EdPKdPKS1_PKPdEviiT1_lT2_lllS8_lllT3_lmli.has_indirect_call, 0
	.section	.AMDGPU.csdata,"",@progbits
; Kernel info:
; codeLenInByte = 588
; TotalNumSgprs: 34
; NumVgprs: 16
; ScratchSize: 0
; MemoryBound: 0
; FloatMode: 240
; IeeeMode: 1
; LDSByteSize: 0 bytes/workgroup (compile time only)
; SGPRBlocks: 0
; VGPRBlocks: 1
; NumSGPRsForWavesPerEU: 34
; NumVGPRsForWavesPerEU: 16
; Occupancy: 16
; WaveLimiterHint : 1
; COMPUTE_PGM_RSRC2:SCRATCH_EN: 0
; COMPUTE_PGM_RSRC2:USER_SGPR: 2
; COMPUTE_PGM_RSRC2:TRAP_HANDLER: 0
; COMPUTE_PGM_RSRC2:TGID_X_EN: 1
; COMPUTE_PGM_RSRC2:TGID_Y_EN: 0
; COMPUTE_PGM_RSRC2:TGID_Z_EN: 1
; COMPUTE_PGM_RSRC2:TIDIG_COMP_CNT: 0
	.section	.text._ZL19rocblas_sger_kernelILi1024EddPKPKdPKPdEviiT1_lT2_lllS8_lllT3_lmli,"axG",@progbits,_ZL19rocblas_sger_kernelILi1024EddPKPKdPKPdEviiT1_lT2_lllS8_lllT3_lmli,comdat
	.globl	_ZL19rocblas_sger_kernelILi1024EddPKPKdPKPdEviiT1_lT2_lllS8_lllT3_lmli ; -- Begin function _ZL19rocblas_sger_kernelILi1024EddPKPKdPKPdEviiT1_lT2_lllS8_lllT3_lmli
	.p2align	8
	.type	_ZL19rocblas_sger_kernelILi1024EddPKPKdPKPdEviiT1_lT2_lllS8_lllT3_lmli,@function
_ZL19rocblas_sger_kernelILi1024EddPKPKdPKPdEviiT1_lT2_lllS8_lllT3_lmli: ; @_ZL19rocblas_sger_kernelILi1024EddPKPKdPKPdEviiT1_lT2_lllS8_lllT3_lmli
; %bb.0:
	s_load_b32 s22, s[0:1], 0x78
	s_lshr_b32 s2, ttmp7, 16
	s_wait_kmcnt 0x0
	s_cmp_ge_u32 s2, s22
	s_cbranch_scc1 .LBB45_8
; %bb.1:
	s_clause 0x7
	s_load_b32 s23, s[0:1], 0x0
	s_load_b128 s[16:19], s[0:1], 0x60
	s_load_b128 s[28:31], s[0:1], 0x40
	s_load_b64 s[4:5], s[0:1], 0x8
	s_load_b128 s[12:15], s[0:1], 0x20
	s_load_b64 s[6:7], s[0:1], 0x38
	s_load_b64 s[8:9], s[0:1], 0x18
	s_load_b64 s[10:11], s[0:1], 0x58
	s_mov_b32 s20, ttmp9
	s_ashr_i32 s21, ttmp9, 31
	s_mov_b32 s3, 0
	s_wait_kmcnt 0x0
	v_cmp_gt_i32_e64 s0, s23, v0
	s_mul_u64 s[18:19], s[18:19], s[20:21]
	s_mul_u64 s[20:21], s[30:31], s[20:21]
	v_cmp_neq_f64_e64 s24, s[4:5], 0
	v_mad_co_u64_u32 v[1:2], null, s14, v0, 0
	s_lshl_b64 s[26:27], s[12:13], 3
	s_lshl_b64 s[12:13], s[14:15], 13
	;; [unrolled: 1-line block ×5, first 2 shown]
	v_mad_co_u64_u32 v[2:3], null, s15, v0, v[2:3]
	v_cndmask_b32_e64 v3, 0, v0, s0
	s_lshl_b64 s[14:15], s[28:29], 3
	s_delay_alu instid0(VALU_DEP_1) | instskip(NEXT) | instid1(VALU_DEP_3)
	v_lshlrev_b32_e32 v9, 3, v3
	v_lshlrev_b64_e32 v[1:2], 3, v[1:2]
	s_delay_alu instid0(VALU_DEP_1) | instskip(NEXT) | instid1(VALU_DEP_1)
	v_add_co_u32 v7, vcc_lo, v1, s26
	v_add_co_ci_u32_e64 v8, null, s27, v2, vcc_lo
	s_branch .LBB45_4
.LBB45_2:                               ;   in Loop: Header=BB45_4 Depth=1
	s_or_b32 exec_lo, exec_lo, s25
.LBB45_3:                               ;   in Loop: Header=BB45_4 Depth=1
	s_add_co_i32 s2, s2, 0x10000
	s_delay_alu instid0(SALU_CYCLE_1)
	s_cmp_lt_u32 s2, s22
	s_cbranch_scc0 .LBB45_8
.LBB45_4:                               ; =>This Loop Header: Depth=1
                                        ;     Child Loop BB45_7 Depth 2
	s_and_not1_b32 vcc_lo, exec_lo, s24
	s_wait_alu 0xfffe
	s_cbranch_vccnz .LBB45_3
; %bb.5:                                ;   in Loop: Header=BB45_4 Depth=1
	s_and_saveexec_b32 s25, s0
	s_cbranch_execz .LBB45_2
; %bb.6:                                ;   in Loop: Header=BB45_4 Depth=1
	s_lshl_b64 s[26:27], s[2:3], 3
	v_mov_b32_e32 v10, v0
	s_wait_alu 0xfffe
	s_add_nc_u64 s[28:29], s[6:7], s[26:27]
	s_load_b64 s[28:29], s[28:29], 0x0
	s_wait_kmcnt 0x0
	s_add_nc_u64 s[28:29], s[28:29], s[14:15]
	s_wait_alu 0xfffe
	s_add_nc_u64 s[28:29], s[28:29], s[20:21]
	s_wait_alu 0xfffe
	v_dual_mov_b32 v1, s28 :: v_dual_mov_b32 v2, s29
	s_add_nc_u64 s[28:29], s[10:11], s[26:27]
	s_add_nc_u64 s[26:27], s[8:9], s[26:27]
	s_load_b64 s[28:29], s[28:29], 0x0
	s_load_b64 s[26:27], s[26:27], 0x0
	flat_load_b64 v[1:2], v[1:2]
	s_wait_kmcnt 0x0
	s_add_nc_u64 s[28:29], s[28:29], s[16:17]
	s_wait_alu 0xfffe
	v_add_co_u32 v3, s1, s28, v9
	s_wait_alu 0xf1ff
	v_add_co_ci_u32_e64 v4, null, s29, 0, s1
	s_delay_alu instid0(VALU_DEP_2) | instskip(SKIP_1) | instid1(VALU_DEP_2)
	v_add_co_u32 v3, vcc_lo, v3, s18
	s_wait_alu 0xfffd
	v_add_co_ci_u32_e64 v4, null, s19, v4, vcc_lo
	v_add_co_u32 v5, vcc_lo, s26, v7
	s_wait_alu 0xfffd
	v_add_co_ci_u32_e64 v6, null, s27, v8, vcc_lo
	s_mov_b32 s26, 0
	s_wait_loadcnt_dscnt 0x0
	v_mul_f64_e32 v[1:2], s[4:5], v[1:2]
.LBB45_7:                               ;   Parent Loop BB45_4 Depth=1
                                        ; =>  This Inner Loop Header: Depth=2
	flat_load_b64 v[11:12], v[5:6]
	flat_load_b64 v[13:14], v[3:4]
	v_add_nc_u32_e32 v10, 0x400, v10
	v_add_co_u32 v5, vcc_lo, v5, s12
	s_wait_alu 0xfffd
	v_add_co_ci_u32_e64 v6, null, s13, v6, vcc_lo
	s_delay_alu instid0(VALU_DEP_3)
	v_cmp_le_i32_e32 vcc_lo, s23, v10
	s_wait_alu 0xfffe
	s_or_b32 s26, vcc_lo, s26
	s_wait_loadcnt_dscnt 0x0
	v_fma_f64 v[11:12], v[1:2], v[11:12], v[13:14]
	flat_store_b64 v[3:4], v[11:12]
	v_add_co_u32 v3, s1, 0x2000, v3
	s_wait_alu 0xf1ff
	v_add_co_ci_u32_e64 v4, null, 0, v4, s1
	s_wait_alu 0xfffe
	s_and_not1_b32 exec_lo, exec_lo, s26
	s_cbranch_execnz .LBB45_7
	s_branch .LBB45_2
.LBB45_8:
	s_endpgm
	.section	.rodata,"a",@progbits
	.p2align	6, 0x0
	.amdhsa_kernel _ZL19rocblas_sger_kernelILi1024EddPKPKdPKPdEviiT1_lT2_lllS8_lllT3_lmli
		.amdhsa_group_segment_fixed_size 0
		.amdhsa_private_segment_fixed_size 0
		.amdhsa_kernarg_size 124
		.amdhsa_user_sgpr_count 2
		.amdhsa_user_sgpr_dispatch_ptr 0
		.amdhsa_user_sgpr_queue_ptr 0
		.amdhsa_user_sgpr_kernarg_segment_ptr 1
		.amdhsa_user_sgpr_dispatch_id 0
		.amdhsa_user_sgpr_private_segment_size 0
		.amdhsa_wavefront_size32 1
		.amdhsa_uses_dynamic_stack 0
		.amdhsa_enable_private_segment 0
		.amdhsa_system_sgpr_workgroup_id_x 1
		.amdhsa_system_sgpr_workgroup_id_y 0
		.amdhsa_system_sgpr_workgroup_id_z 1
		.amdhsa_system_sgpr_workgroup_info 0
		.amdhsa_system_vgpr_workitem_id 0
		.amdhsa_next_free_vgpr 15
		.amdhsa_next_free_sgpr 32
		.amdhsa_reserve_vcc 1
		.amdhsa_float_round_mode_32 0
		.amdhsa_float_round_mode_16_64 0
		.amdhsa_float_denorm_mode_32 3
		.amdhsa_float_denorm_mode_16_64 3
		.amdhsa_fp16_overflow 0
		.amdhsa_workgroup_processor_mode 1
		.amdhsa_memory_ordered 1
		.amdhsa_forward_progress 1
		.amdhsa_inst_pref_size 5
		.amdhsa_round_robin_scheduling 0
		.amdhsa_exception_fp_ieee_invalid_op 0
		.amdhsa_exception_fp_denorm_src 0
		.amdhsa_exception_fp_ieee_div_zero 0
		.amdhsa_exception_fp_ieee_overflow 0
		.amdhsa_exception_fp_ieee_underflow 0
		.amdhsa_exception_fp_ieee_inexact 0
		.amdhsa_exception_int_div_zero 0
	.end_amdhsa_kernel
	.section	.text._ZL19rocblas_sger_kernelILi1024EddPKPKdPKPdEviiT1_lT2_lllS8_lllT3_lmli,"axG",@progbits,_ZL19rocblas_sger_kernelILi1024EddPKPKdPKPdEviiT1_lT2_lllS8_lllT3_lmli,comdat
.Lfunc_end45:
	.size	_ZL19rocblas_sger_kernelILi1024EddPKPKdPKPdEviiT1_lT2_lllS8_lllT3_lmli, .Lfunc_end45-_ZL19rocblas_sger_kernelILi1024EddPKPKdPKPdEviiT1_lT2_lllS8_lllT3_lmli
                                        ; -- End function
	.set _ZL19rocblas_sger_kernelILi1024EddPKPKdPKPdEviiT1_lT2_lllS8_lllT3_lmli.num_vgpr, 15
	.set _ZL19rocblas_sger_kernelILi1024EddPKPKdPKPdEviiT1_lT2_lllS8_lllT3_lmli.num_agpr, 0
	.set _ZL19rocblas_sger_kernelILi1024EddPKPKdPKPdEviiT1_lT2_lllS8_lllT3_lmli.numbered_sgpr, 32
	.set _ZL19rocblas_sger_kernelILi1024EddPKPKdPKPdEviiT1_lT2_lllS8_lllT3_lmli.num_named_barrier, 0
	.set _ZL19rocblas_sger_kernelILi1024EddPKPKdPKPdEviiT1_lT2_lllS8_lllT3_lmli.private_seg_size, 0
	.set _ZL19rocblas_sger_kernelILi1024EddPKPKdPKPdEviiT1_lT2_lllS8_lllT3_lmli.uses_vcc, 1
	.set _ZL19rocblas_sger_kernelILi1024EddPKPKdPKPdEviiT1_lT2_lllS8_lllT3_lmli.uses_flat_scratch, 0
	.set _ZL19rocblas_sger_kernelILi1024EddPKPKdPKPdEviiT1_lT2_lllS8_lllT3_lmli.has_dyn_sized_stack, 0
	.set _ZL19rocblas_sger_kernelILi1024EddPKPKdPKPdEviiT1_lT2_lllS8_lllT3_lmli.has_recursion, 0
	.set _ZL19rocblas_sger_kernelILi1024EddPKPKdPKPdEviiT1_lT2_lllS8_lllT3_lmli.has_indirect_call, 0
	.section	.AMDGPU.csdata,"",@progbits
; Kernel info:
; codeLenInByte = 572
; TotalNumSgprs: 34
; NumVgprs: 15
; ScratchSize: 0
; MemoryBound: 0
; FloatMode: 240
; IeeeMode: 1
; LDSByteSize: 0 bytes/workgroup (compile time only)
; SGPRBlocks: 0
; VGPRBlocks: 1
; NumSGPRsForWavesPerEU: 34
; NumVGPRsForWavesPerEU: 15
; Occupancy: 16
; WaveLimiterHint : 1
; COMPUTE_PGM_RSRC2:SCRATCH_EN: 0
; COMPUTE_PGM_RSRC2:USER_SGPR: 2
; COMPUTE_PGM_RSRC2:TRAP_HANDLER: 0
; COMPUTE_PGM_RSRC2:TGID_X_EN: 1
; COMPUTE_PGM_RSRC2:TGID_Y_EN: 0
; COMPUTE_PGM_RSRC2:TGID_Z_EN: 1
; COMPUTE_PGM_RSRC2:TIDIG_COMP_CNT: 0
	.section	.text._ZL18rocblas_ger_kernelILi32ELi32ELi2ELb0EdPKdPKS1_PKPdEviiT4_lT5_lllS8_lllT6_lmli,"axG",@progbits,_ZL18rocblas_ger_kernelILi32ELi32ELi2ELb0EdPKdPKS1_PKPdEviiT4_lT5_lllS8_lllT6_lmli,comdat
	.globl	_ZL18rocblas_ger_kernelILi32ELi32ELi2ELb0EdPKdPKS1_PKPdEviiT4_lT5_lllS8_lllT6_lmli ; -- Begin function _ZL18rocblas_ger_kernelILi32ELi32ELi2ELb0EdPKdPKS1_PKPdEviiT4_lT5_lllS8_lllT6_lmli
	.p2align	8
	.type	_ZL18rocblas_ger_kernelILi32ELi32ELi2ELb0EdPKdPKS1_PKPdEviiT4_lT5_lllS8_lllT6_lmli,@function
_ZL18rocblas_ger_kernelILi32ELi32ELi2ELb0EdPKdPKS1_PKPdEviiT4_lT5_lllS8_lllT6_lmli: ; @_ZL18rocblas_ger_kernelILi32ELi32ELi2ELb0EdPKdPKS1_PKPdEviiT4_lT5_lllS8_lllT6_lmli
; %bb.0:
	s_load_b32 s30, s[0:1], 0x78
	s_lshr_b32 s6, ttmp7, 16
	s_wait_kmcnt 0x0
	s_cmp_ge_u32 s6, s30
	s_cbranch_scc1 .LBB46_18
; %bb.1:
	s_clause 0x7
	s_load_b64 s[4:5], s[0:1], 0x0
	s_load_b128 s[8:11], s[0:1], 0x8
	s_load_b64 s[24:25], s[0:1], 0x18
	s_load_b128 s[12:15], s[0:1], 0x20
	;; [unrolled: 2-line block ×4, first 2 shown]
	s_wait_kmcnt 0x0
	s_add_co_i32 s2, s4, -1
	s_delay_alu instid0(SALU_CYCLE_1) | instskip(NEXT) | instid1(SALU_CYCLE_1)
	s_ashr_i32 s3, s2, 31
	s_lshr_b32 s3, s3, 27
	s_delay_alu instid0(SALU_CYCLE_1) | instskip(NEXT) | instid1(SALU_CYCLE_1)
	s_add_co_i32 s2, s2, s3
	s_ashr_i32 s2, s2, 5
	s_delay_alu instid0(SALU_CYCLE_1) | instskip(SKIP_2) | instid1(SALU_CYCLE_3)
	s_add_co_i32 s3, s2, 1
	s_not_b32 s2, s2
	s_cvt_f32_u32 s7, s3
	v_rcp_iflag_f32_e32 v1, s7
	s_delay_alu instid0(TRANS32_DEP_1) | instskip(SKIP_3) | instid1(VALU_DEP_2)
	v_readfirstlane_b32 s7, v1
	v_bfe_u32 v1, v0, 10, 10
	v_and_b32_e32 v0, 0x3ff, v0
	s_mul_f32 s7, s7, 0x4f7ffffe
	v_lshlrev_b32_e32 v2, 1, v1
	s_delay_alu instid0(VALU_DEP_2) | instskip(SKIP_3) | instid1(VALU_DEP_2)
	v_lshlrev_b32_e32 v3, 3, v0
	v_lshlrev_b32_e32 v14, 4, v1
	s_wait_alu 0xfffe
	s_cvt_u32_f32 s7, s7
	v_add_nc_u32_e32 v15, 0x200, v3
	s_wait_alu 0xfffe
	s_delay_alu instid0(SALU_CYCLE_1) | instskip(SKIP_2) | instid1(SALU_CYCLE_1)
	s_mul_i32 s2, s2, s7
	v_add_nc_u32_e32 v16, v14, v3
	s_mul_hi_u32 s0, s7, s2
	s_add_co_i32 s0, s7, s0
	s_mov_b32 s7, 0
	s_mul_hi_u32 s1, ttmp9, s0
	v_cmp_eq_u32_e64 s0, 0, v1
	s_mul_i32 s2, s1, s3
	s_add_co_i32 s31, s1, 1
	s_sub_co_i32 s2, ttmp9, s2
	s_delay_alu instid0(SALU_CYCLE_1)
	s_sub_co_i32 s33, s2, s3
	s_cmp_ge_u32 s2, s3
	s_cselect_b32 s1, s31, s1
	s_cselect_b32 s2, s33, s2
	s_add_co_i32 s31, s1, 1
	s_cmp_ge_u32 s2, s3
	s_cselect_b32 s2, s31, s1
	v_cmp_gt_u32_e64 s1, 2, v0
	v_lshl_add_u32 v10, s2, 6, v2
	s_mul_i32 s2, s2, s3
	s_lshl_b64 s[12:13], s[12:13], 3
	s_wait_alu 0xfffe
	s_sub_co_i32 s2, ttmp9, s2
	v_or_b32_e32 v11, v10, v0
	s_wait_alu 0xfffe
	v_lshl_add_u32 v0, s2, 5, v0
	v_ashrrev_i32_e32 v8, 31, v10
	v_or_b32_e32 v13, 1, v10
	v_mul_lo_u32 v12, s23, v10
	v_mad_co_u64_u32 v[6:7], null, s18, v11, 0
	v_ashrrev_i32_e32 v1, 31, v0
	v_mul_lo_u32 v18, s22, v8
	v_mad_co_u64_u32 v[2:3], null, s22, v10, 0
	v_mul_lo_u32 v17, s15, v0
	v_mad_co_u64_u32 v[4:5], null, s14, v0, 0
	v_mad_co_u64_u32 v[7:8], null, s19, v11, v[7:8]
	v_mul_lo_u32 v19, s23, v13
	v_mul_lo_u32 v20, s14, v1
	v_mad_co_u64_u32 v[8:9], null, s22, v13, 0
	v_add3_u32 v3, v3, v18, v12
	v_cmp_gt_i32_e64 s3, s4, v0
	v_lshlrev_b64_e32 v[0:1], 3, v[0:1]
	v_lshlrev_b64_e32 v[6:7], 3, v[6:7]
	v_cmp_gt_i32_e64 s2, s5, v10
	v_add3_u32 v5, v5, v20, v17
	v_add3_u32 v9, v9, v18, v19
	v_lshlrev_b64_e32 v[2:3], 3, v[2:3]
	v_cmp_gt_u32_e64 s4, s5, v11
	v_cmp_gt_i32_e64 s5, s5, v13
	v_lshlrev_b64_e32 v[4:5], 3, v[4:5]
	v_lshlrev_b64_e32 v[8:9], 3, v[8:9]
	v_mov_b32_e32 v17, 0
	s_lshl_b64 s[14:15], s[16:17], 3
	s_lshl_b64 s[16:17], s[20:21], 3
	s_branch .LBB46_4
.LBB46_2:                               ;   in Loop: Header=BB46_4 Depth=1
	s_wait_alu 0xfffe
	s_or_b32 exec_lo, exec_lo, s20
.LBB46_3:                               ;   in Loop: Header=BB46_4 Depth=1
	s_add_co_i32 s6, s6, 0x10000
	s_wait_alu 0xfffe
	s_cmp_lt_u32 s6, s30
	s_cbranch_scc0 .LBB46_18
.LBB46_4:                               ; =>This Inner Loop Header: Depth=1
	s_mul_u64 s[18:19], s[10:11], s[6:7]
	s_wait_alu 0xfffe
	s_lshl_b64 s[18:19], s[18:19], 3
	s_wait_alu 0xfffe
	s_add_nc_u64 s[18:19], s[8:9], s[18:19]
	global_load_b64 v[10:11], v17, s[18:19]
	s_wait_loadcnt 0x0
	v_cmp_eq_f64_e32 vcc_lo, 0, v[10:11]
	s_cbranch_vccnz .LBB46_3
; %bb.5:                                ;   in Loop: Header=BB46_4 Depth=1
	s_lshl_b64 s[22:23], s[6:7], 3
	s_wait_alu 0xfffe
	s_add_nc_u64 s[18:19], s[26:27], s[22:23]
	s_add_nc_u64 s[34:35], s[28:29], s[22:23]
	s_load_b64 s[20:21], s[18:19], 0x0
	s_load_b64 s[18:19], s[34:35], 0x0
	s_and_saveexec_b32 s31, s0
	s_cbranch_execz .LBB46_9
; %bb.6:                                ;   in Loop: Header=BB46_4 Depth=1
	v_mov_b32_e32 v12, 0
	v_mov_b32_e32 v13, 0
	s_and_saveexec_b32 s33, s3
	s_cbranch_execz .LBB46_8
; %bb.7:                                ;   in Loop: Header=BB46_4 Depth=1
	s_add_nc_u64 s[22:23], s[24:25], s[22:23]
	s_load_b64 s[22:23], s[22:23], 0x0
	s_wait_kmcnt 0x0
	s_add_nc_u64 s[22:23], s[22:23], s[12:13]
	s_wait_alu 0xfffe
	v_add_co_u32 v12, vcc_lo, s22, v4
	s_wait_alu 0xfffd
	v_add_co_ci_u32_e64 v13, null, s23, v5, vcc_lo
	flat_load_b64 v[12:13], v[12:13]
.LBB46_8:                               ;   in Loop: Header=BB46_4 Depth=1
	s_or_b32 exec_lo, exec_lo, s33
	s_wait_loadcnt_dscnt 0x0
	ds_store_b64 v15, v[12:13]
.LBB46_9:                               ;   in Loop: Header=BB46_4 Depth=1
	s_or_b32 exec_lo, exec_lo, s31
	s_and_saveexec_b32 s22, s1
	s_cbranch_execz .LBB46_13
; %bb.10:                               ;   in Loop: Header=BB46_4 Depth=1
	v_mov_b32_e32 v12, 0
	v_mov_b32_e32 v13, 0
	s_and_saveexec_b32 s23, s4
	s_cbranch_execz .LBB46_12
; %bb.11:                               ;   in Loop: Header=BB46_4 Depth=1
	s_wait_kmcnt 0x0
	s_add_nc_u64 s[20:21], s[20:21], s[14:15]
	s_wait_alu 0xfffe
	v_add_co_u32 v12, vcc_lo, s20, v6
	s_wait_alu 0xfffd
	v_add_co_ci_u32_e64 v13, null, s21, v7, vcc_lo
	flat_load_b64 v[12:13], v[12:13]
.LBB46_12:                              ;   in Loop: Header=BB46_4 Depth=1
	s_wait_alu 0xfffe
	s_or_b32 exec_lo, exec_lo, s23
	s_wait_loadcnt_dscnt 0x0
	ds_store_b64 v16, v[12:13]
.LBB46_13:                              ;   in Loop: Header=BB46_4 Depth=1
	s_wait_alu 0xfffe
	s_or_b32 exec_lo, exec_lo, s22
	s_wait_dscnt 0x0
	s_barrier_signal -1
	s_barrier_wait -1
	global_inv scope:SCOPE_SE
	s_wait_kmcnt 0x0
	s_and_saveexec_b32 s20, s3
	s_cbranch_execz .LBB46_2
; %bb.14:                               ;   in Loop: Header=BB46_4 Depth=1
	ds_load_b64 v[12:13], v15
	s_add_nc_u64 s[18:19], s[18:19], s[16:17]
	s_wait_dscnt 0x0
	v_mul_f64_e32 v[10:11], v[10:11], v[12:13]
	s_wait_alu 0xfffe
	v_add_co_u32 v12, vcc_lo, s18, v0
	s_wait_alu 0xfffd
	v_add_co_ci_u32_e64 v13, null, s19, v1, vcc_lo
	s_and_saveexec_b32 s18, s2
	s_cbranch_execz .LBB46_16
; %bb.15:                               ;   in Loop: Header=BB46_4 Depth=1
	v_add_co_u32 v18, vcc_lo, v12, v2
	s_wait_alu 0xfffd
	v_add_co_ci_u32_e64 v19, null, v13, v3, vcc_lo
	ds_load_b64 v[22:23], v14
	flat_load_b64 v[20:21], v[18:19]
	s_wait_loadcnt_dscnt 0x0
	v_fma_f64 v[20:21], v[10:11], v[22:23], v[20:21]
	flat_store_b64 v[18:19], v[20:21]
.LBB46_16:                              ;   in Loop: Header=BB46_4 Depth=1
	s_wait_alu 0xfffe
	s_or_b32 exec_lo, exec_lo, s18
	s_delay_alu instid0(SALU_CYCLE_1)
	s_and_b32 exec_lo, exec_lo, s5
	s_cbranch_execz .LBB46_2
; %bb.17:                               ;   in Loop: Header=BB46_4 Depth=1
	v_add_co_u32 v12, vcc_lo, v12, v8
	s_wait_alu 0xfffd
	v_add_co_ci_u32_e64 v13, null, v13, v9, vcc_lo
	ds_load_b64 v[20:21], v14 offset:8
	flat_load_b64 v[18:19], v[12:13]
	s_wait_loadcnt_dscnt 0x0
	v_fma_f64 v[10:11], v[10:11], v[20:21], v[18:19]
	flat_store_b64 v[12:13], v[10:11]
	s_branch .LBB46_2
.LBB46_18:
	s_endpgm
	.section	.rodata,"a",@progbits
	.p2align	6, 0x0
	.amdhsa_kernel _ZL18rocblas_ger_kernelILi32ELi32ELi2ELb0EdPKdPKS1_PKPdEviiT4_lT5_lllS8_lllT6_lmli
		.amdhsa_group_segment_fixed_size 768
		.amdhsa_private_segment_fixed_size 0
		.amdhsa_kernarg_size 124
		.amdhsa_user_sgpr_count 2
		.amdhsa_user_sgpr_dispatch_ptr 0
		.amdhsa_user_sgpr_queue_ptr 0
		.amdhsa_user_sgpr_kernarg_segment_ptr 1
		.amdhsa_user_sgpr_dispatch_id 0
		.amdhsa_user_sgpr_private_segment_size 0
		.amdhsa_wavefront_size32 1
		.amdhsa_uses_dynamic_stack 0
		.amdhsa_enable_private_segment 0
		.amdhsa_system_sgpr_workgroup_id_x 1
		.amdhsa_system_sgpr_workgroup_id_y 0
		.amdhsa_system_sgpr_workgroup_id_z 1
		.amdhsa_system_sgpr_workgroup_info 0
		.amdhsa_system_vgpr_workitem_id 1
		.amdhsa_next_free_vgpr 24
		.amdhsa_next_free_sgpr 36
		.amdhsa_reserve_vcc 1
		.amdhsa_float_round_mode_32 0
		.amdhsa_float_round_mode_16_64 0
		.amdhsa_float_denorm_mode_32 3
		.amdhsa_float_denorm_mode_16_64 3
		.amdhsa_fp16_overflow 0
		.amdhsa_workgroup_processor_mode 1
		.amdhsa_memory_ordered 1
		.amdhsa_forward_progress 1
		.amdhsa_inst_pref_size 9
		.amdhsa_round_robin_scheduling 0
		.amdhsa_exception_fp_ieee_invalid_op 0
		.amdhsa_exception_fp_denorm_src 0
		.amdhsa_exception_fp_ieee_div_zero 0
		.amdhsa_exception_fp_ieee_overflow 0
		.amdhsa_exception_fp_ieee_underflow 0
		.amdhsa_exception_fp_ieee_inexact 0
		.amdhsa_exception_int_div_zero 0
	.end_amdhsa_kernel
	.section	.text._ZL18rocblas_ger_kernelILi32ELi32ELi2ELb0EdPKdPKS1_PKPdEviiT4_lT5_lllS8_lllT6_lmli,"axG",@progbits,_ZL18rocblas_ger_kernelILi32ELi32ELi2ELb0EdPKdPKS1_PKPdEviiT4_lT5_lllS8_lllT6_lmli,comdat
.Lfunc_end46:
	.size	_ZL18rocblas_ger_kernelILi32ELi32ELi2ELb0EdPKdPKS1_PKPdEviiT4_lT5_lllS8_lllT6_lmli, .Lfunc_end46-_ZL18rocblas_ger_kernelILi32ELi32ELi2ELb0EdPKdPKS1_PKPdEviiT4_lT5_lllS8_lllT6_lmli
                                        ; -- End function
	.set _ZL18rocblas_ger_kernelILi32ELi32ELi2ELb0EdPKdPKS1_PKPdEviiT4_lT5_lllS8_lllT6_lmli.num_vgpr, 24
	.set _ZL18rocblas_ger_kernelILi32ELi32ELi2ELb0EdPKdPKS1_PKPdEviiT4_lT5_lllS8_lllT6_lmli.num_agpr, 0
	.set _ZL18rocblas_ger_kernelILi32ELi32ELi2ELb0EdPKdPKS1_PKPdEviiT4_lT5_lllS8_lllT6_lmli.numbered_sgpr, 36
	.set _ZL18rocblas_ger_kernelILi32ELi32ELi2ELb0EdPKdPKS1_PKPdEviiT4_lT5_lllS8_lllT6_lmli.num_named_barrier, 0
	.set _ZL18rocblas_ger_kernelILi32ELi32ELi2ELb0EdPKdPKS1_PKPdEviiT4_lT5_lllS8_lllT6_lmli.private_seg_size, 0
	.set _ZL18rocblas_ger_kernelILi32ELi32ELi2ELb0EdPKdPKS1_PKPdEviiT4_lT5_lllS8_lllT6_lmli.uses_vcc, 1
	.set _ZL18rocblas_ger_kernelILi32ELi32ELi2ELb0EdPKdPKS1_PKPdEviiT4_lT5_lllS8_lllT6_lmli.uses_flat_scratch, 0
	.set _ZL18rocblas_ger_kernelILi32ELi32ELi2ELb0EdPKdPKS1_PKPdEviiT4_lT5_lllS8_lllT6_lmli.has_dyn_sized_stack, 0
	.set _ZL18rocblas_ger_kernelILi32ELi32ELi2ELb0EdPKdPKS1_PKPdEviiT4_lT5_lllS8_lllT6_lmli.has_recursion, 0
	.set _ZL18rocblas_ger_kernelILi32ELi32ELi2ELb0EdPKdPKS1_PKPdEviiT4_lT5_lllS8_lllT6_lmli.has_indirect_call, 0
	.section	.AMDGPU.csdata,"",@progbits
; Kernel info:
; codeLenInByte = 1068
; TotalNumSgprs: 38
; NumVgprs: 24
; ScratchSize: 0
; MemoryBound: 0
; FloatMode: 240
; IeeeMode: 1
; LDSByteSize: 768 bytes/workgroup (compile time only)
; SGPRBlocks: 0
; VGPRBlocks: 2
; NumSGPRsForWavesPerEU: 38
; NumVGPRsForWavesPerEU: 24
; Occupancy: 16
; WaveLimiterHint : 1
; COMPUTE_PGM_RSRC2:SCRATCH_EN: 0
; COMPUTE_PGM_RSRC2:USER_SGPR: 2
; COMPUTE_PGM_RSRC2:TRAP_HANDLER: 0
; COMPUTE_PGM_RSRC2:TGID_X_EN: 1
; COMPUTE_PGM_RSRC2:TGID_Y_EN: 0
; COMPUTE_PGM_RSRC2:TGID_Z_EN: 1
; COMPUTE_PGM_RSRC2:TIDIG_COMP_CNT: 1
	.section	.text._ZL18rocblas_ger_kernelILi32ELi32ELi2ELb0EddPKPKdPKPdEviiT4_lT5_lllS8_lllT6_lmli,"axG",@progbits,_ZL18rocblas_ger_kernelILi32ELi32ELi2ELb0EddPKPKdPKPdEviiT4_lT5_lllS8_lllT6_lmli,comdat
	.globl	_ZL18rocblas_ger_kernelILi32ELi32ELi2ELb0EddPKPKdPKPdEviiT4_lT5_lllS8_lllT6_lmli ; -- Begin function _ZL18rocblas_ger_kernelILi32ELi32ELi2ELb0EddPKPKdPKPdEviiT4_lT5_lllS8_lllT6_lmli
	.p2align	8
	.type	_ZL18rocblas_ger_kernelILi32ELi32ELi2ELb0EddPKPKdPKPdEviiT4_lT5_lllS8_lllT6_lmli,@function
_ZL18rocblas_ger_kernelILi32ELi32ELi2ELb0EddPKPKdPKPdEviiT4_lT5_lllS8_lllT6_lmli: ; @_ZL18rocblas_ger_kernelILi32ELi32ELi2ELb0EddPKPKdPKPdEviiT4_lT5_lllS8_lllT6_lmli
; %bb.0:
	s_load_b32 s28, s[0:1], 0x78
	s_lshr_b32 s20, ttmp7, 16
	s_wait_kmcnt 0x0
	s_cmp_ge_u32 s20, s28
	s_cbranch_scc1 .LBB47_18
; %bb.1:
	s_clause 0x1
	s_load_b128 s[4:7], s[0:1], 0x0
	s_load_b128 s[16:19], s[0:1], 0x60
	v_and_b32_e32 v2, 0x3ff, v0
	s_wait_kmcnt 0x0
	s_add_co_i32 s2, s4, -1
	s_delay_alu instid0(SALU_CYCLE_1) | instskip(NEXT) | instid1(SALU_CYCLE_1)
	s_ashr_i32 s3, s2, 31
	s_lshr_b32 s3, s3, 27
	s_delay_alu instid0(SALU_CYCLE_1) | instskip(NEXT) | instid1(SALU_CYCLE_1)
	s_add_co_i32 s2, s2, s3
	s_ashr_i32 s2, s2, 5
	s_delay_alu instid0(SALU_CYCLE_1) | instskip(SKIP_2) | instid1(SALU_CYCLE_3)
	s_add_co_i32 s3, s2, 1
	s_not_b32 s2, s2
	s_cvt_f32_u32 s8, s3
	v_rcp_iflag_f32_e32 v1, s8
	s_delay_alu instid0(TRANS32_DEP_1)
	v_readfirstlane_b32 s8, v1
	v_bfe_u32 v1, v0, 10, 10
	s_mul_f32 s12, s8, 0x4f7ffffe
	s_clause 0x2
	s_load_b64 s[22:23], s[0:1], 0x18
	s_load_b64 s[24:25], s[0:1], 0x38
	s_load_b128 s[8:11], s[0:1], 0x20
	v_lshlrev_b32_e32 v0, 1, v1
	v_lshlrev_b32_e32 v12, 4, v1
	s_cvt_u32_f32 s21, s12
	s_clause 0x1
	s_load_b64 s[26:27], s[0:1], 0x58
	s_load_b128 s[12:15], s[0:1], 0x40
	s_mul_i32 s2, s2, s21
	s_delay_alu instid0(SALU_CYCLE_1) | instskip(NEXT) | instid1(SALU_CYCLE_1)
	s_mul_hi_u32 s0, s21, s2
	s_add_co_i32 s0, s21, s0
	s_mov_b32 s21, 0
	s_mul_hi_u32 s1, ttmp9, s0
	v_cmp_eq_u32_e64 s0, 0, v1
	s_mul_i32 s2, s1, s3
	s_add_co_i32 s29, s1, 1
	s_sub_co_i32 s2, ttmp9, s2
	s_delay_alu instid0(SALU_CYCLE_1)
	s_sub_co_i32 s30, s2, s3
	s_cmp_ge_u32 s2, s3
	s_cselect_b32 s29, s29, s1
	s_cselect_b32 s1, s30, s2
	s_add_co_i32 s2, s29, 1
	s_cmp_ge_u32 s1, s3
	s_cselect_b32 s2, s2, s29
	v_cmp_neq_f64_e64 s29, s[6:7], 0
	v_lshl_add_u32 v15, s2, 6, v0
	s_mul_i32 s2, s2, s3
	s_wait_kmcnt 0x0
	s_lshl_b64 s[8:9], s[8:9], 3
	s_wait_alu 0xfffe
	s_sub_co_i32 s2, ttmp9, s2
	s_wait_alu 0xfffe
	v_lshl_add_u32 v0, s2, 5, v2
	v_or_b32_e32 v16, v15, v2
	v_ashrrev_i32_e32 v4, 31, v15
	v_or_b32_e32 v18, 1, v15
	v_mul_lo_u32 v17, s19, v15
	v_ashrrev_i32_e32 v1, 31, v0
	v_mad_co_u64_u32 v[8:9], null, s14, v16, 0
	v_mul_lo_u32 v20, s18, v4
	v_mul_lo_u32 v19, s11, v0
	v_mad_co_u64_u32 v[6:7], null, s10, v0, 0
	v_mul_lo_u32 v21, s19, v18
	v_mad_co_u64_u32 v[10:11], null, s18, v18, 0
	v_mov_b32_e32 v4, v9
	v_mul_lo_u32 v9, s10, v1
	v_cmp_gt_i32_e64 s3, s4, v0
	v_lshlrev_b64_e32 v[0:1], 3, v[0:1]
	v_cmp_gt_i32_e64 s2, s5, v15
	v_mad_co_u64_u32 v[4:5], null, s15, v16, v[4:5]
	v_add3_u32 v11, v11, v20, v21
	v_cmp_gt_u32_e64 s4, s5, v16
	v_add3_u32 v7, v7, v9, v19
	v_cmp_gt_i32_e64 s5, s5, v18
	s_lshl_b64 s[10:11], s[12:13], 3
	s_lshl_b64 s[12:13], s[16:17], 3
	v_mov_b32_e32 v9, v4
	v_lshlrev_b32_e32 v3, 3, v2
	v_cmp_gt_u32_e64 s1, 2, v2
	v_lshlrev_b64_e32 v[4:5], 3, v[10:11]
	v_lshlrev_b64_e32 v[6:7], 3, v[6:7]
	;; [unrolled: 1-line block ×3, first 2 shown]
	v_add_nc_u32_e32 v13, 0x200, v3
	v_add_nc_u32_e32 v14, v12, v3
	v_mad_co_u64_u32 v[2:3], null, s18, v15, 0
	s_delay_alu instid0(VALU_DEP_1) | instskip(NEXT) | instid1(VALU_DEP_1)
	v_add3_u32 v3, v3, v20, v17
	v_lshlrev_b64_e32 v[2:3], 3, v[2:3]
	s_branch .LBB47_4
.LBB47_2:                               ;   in Loop: Header=BB47_4 Depth=1
	s_wait_alu 0xfffe
	s_or_b32 exec_lo, exec_lo, s16
.LBB47_3:                               ;   in Loop: Header=BB47_4 Depth=1
	s_add_co_i32 s20, s20, 0x10000
	s_delay_alu instid0(SALU_CYCLE_1)
	s_cmp_lt_u32 s20, s28
	s_cbranch_scc0 .LBB47_18
.LBB47_4:                               ; =>This Inner Loop Header: Depth=1
	s_and_not1_b32 vcc_lo, exec_lo, s29
	s_wait_alu 0xfffe
	s_cbranch_vccnz .LBB47_3
; %bb.5:                                ;   in Loop: Header=BB47_4 Depth=1
	s_lshl_b64 s[18:19], s[20:21], 3
	s_wait_alu 0xfffe
	s_add_nc_u64 s[14:15], s[24:25], s[18:19]
	s_add_nc_u64 s[30:31], s[26:27], s[18:19]
	s_load_b64 s[16:17], s[14:15], 0x0
	s_load_b64 s[14:15], s[30:31], 0x0
	s_and_saveexec_b32 s30, s0
	s_cbranch_execz .LBB47_9
; %bb.6:                                ;   in Loop: Header=BB47_4 Depth=1
	v_mov_b32_e32 v10, 0
	v_mov_b32_e32 v11, 0
	s_and_saveexec_b32 s31, s3
	s_cbranch_execz .LBB47_8
; %bb.7:                                ;   in Loop: Header=BB47_4 Depth=1
	s_add_nc_u64 s[18:19], s[22:23], s[18:19]
	s_load_b64 s[18:19], s[18:19], 0x0
	s_wait_kmcnt 0x0
	s_add_nc_u64 s[18:19], s[18:19], s[8:9]
	s_wait_alu 0xfffe
	v_add_co_u32 v10, vcc_lo, s18, v6
	s_wait_alu 0xfffd
	v_add_co_ci_u32_e64 v11, null, s19, v7, vcc_lo
	flat_load_b64 v[10:11], v[10:11]
.LBB47_8:                               ;   in Loop: Header=BB47_4 Depth=1
	s_or_b32 exec_lo, exec_lo, s31
	s_wait_loadcnt_dscnt 0x0
	ds_store_b64 v13, v[10:11]
.LBB47_9:                               ;   in Loop: Header=BB47_4 Depth=1
	s_or_b32 exec_lo, exec_lo, s30
	s_and_saveexec_b32 s18, s1
	s_cbranch_execz .LBB47_13
; %bb.10:                               ;   in Loop: Header=BB47_4 Depth=1
	v_mov_b32_e32 v10, 0
	v_mov_b32_e32 v11, 0
	s_and_saveexec_b32 s19, s4
	s_cbranch_execz .LBB47_12
; %bb.11:                               ;   in Loop: Header=BB47_4 Depth=1
	s_wait_kmcnt 0x0
	s_add_nc_u64 s[16:17], s[16:17], s[10:11]
	s_wait_alu 0xfffe
	v_add_co_u32 v10, vcc_lo, s16, v8
	s_wait_alu 0xfffd
	v_add_co_ci_u32_e64 v11, null, s17, v9, vcc_lo
	flat_load_b64 v[10:11], v[10:11]
.LBB47_12:                              ;   in Loop: Header=BB47_4 Depth=1
	s_wait_alu 0xfffe
	s_or_b32 exec_lo, exec_lo, s19
	s_wait_loadcnt_dscnt 0x0
	ds_store_b64 v14, v[10:11]
.LBB47_13:                              ;   in Loop: Header=BB47_4 Depth=1
	s_wait_alu 0xfffe
	s_or_b32 exec_lo, exec_lo, s18
	s_wait_dscnt 0x0
	s_barrier_signal -1
	s_barrier_wait -1
	global_inv scope:SCOPE_SE
	s_wait_kmcnt 0x0
	s_and_saveexec_b32 s16, s3
	s_cbranch_execz .LBB47_2
; %bb.14:                               ;   in Loop: Header=BB47_4 Depth=1
	ds_load_b64 v[10:11], v13
	s_add_nc_u64 s[14:15], s[14:15], s[12:13]
	s_wait_alu 0xfffe
	v_add_co_u32 v15, vcc_lo, s14, v0
	s_wait_alu 0xfffd
	v_add_co_ci_u32_e64 v16, null, s15, v1, vcc_lo
	s_wait_dscnt 0x0
	v_mul_f64_e32 v[10:11], s[6:7], v[10:11]
	s_and_saveexec_b32 s14, s2
	s_cbranch_execz .LBB47_16
; %bb.15:                               ;   in Loop: Header=BB47_4 Depth=1
	v_add_co_u32 v17, vcc_lo, v15, v2
	s_wait_alu 0xfffd
	v_add_co_ci_u32_e64 v18, null, v16, v3, vcc_lo
	ds_load_b64 v[21:22], v12
	flat_load_b64 v[19:20], v[17:18]
	s_wait_loadcnt_dscnt 0x0
	v_fma_f64 v[19:20], v[10:11], v[21:22], v[19:20]
	flat_store_b64 v[17:18], v[19:20]
.LBB47_16:                              ;   in Loop: Header=BB47_4 Depth=1
	s_wait_alu 0xfffe
	s_or_b32 exec_lo, exec_lo, s14
	s_delay_alu instid0(SALU_CYCLE_1)
	s_and_b32 exec_lo, exec_lo, s5
	s_cbranch_execz .LBB47_2
; %bb.17:                               ;   in Loop: Header=BB47_4 Depth=1
	v_add_co_u32 v15, vcc_lo, v15, v4
	s_wait_alu 0xfffd
	v_add_co_ci_u32_e64 v16, null, v16, v5, vcc_lo
	ds_load_b64 v[19:20], v12 offset:8
	flat_load_b64 v[17:18], v[15:16]
	s_wait_loadcnt_dscnt 0x0
	v_fma_f64 v[10:11], v[10:11], v[19:20], v[17:18]
	flat_store_b64 v[15:16], v[10:11]
	s_branch .LBB47_2
.LBB47_18:
	s_endpgm
	.section	.rodata,"a",@progbits
	.p2align	6, 0x0
	.amdhsa_kernel _ZL18rocblas_ger_kernelILi32ELi32ELi2ELb0EddPKPKdPKPdEviiT4_lT5_lllS8_lllT6_lmli
		.amdhsa_group_segment_fixed_size 768
		.amdhsa_private_segment_fixed_size 0
		.amdhsa_kernarg_size 124
		.amdhsa_user_sgpr_count 2
		.amdhsa_user_sgpr_dispatch_ptr 0
		.amdhsa_user_sgpr_queue_ptr 0
		.amdhsa_user_sgpr_kernarg_segment_ptr 1
		.amdhsa_user_sgpr_dispatch_id 0
		.amdhsa_user_sgpr_private_segment_size 0
		.amdhsa_wavefront_size32 1
		.amdhsa_uses_dynamic_stack 0
		.amdhsa_enable_private_segment 0
		.amdhsa_system_sgpr_workgroup_id_x 1
		.amdhsa_system_sgpr_workgroup_id_y 0
		.amdhsa_system_sgpr_workgroup_id_z 1
		.amdhsa_system_sgpr_workgroup_info 0
		.amdhsa_system_vgpr_workitem_id 1
		.amdhsa_next_free_vgpr 23
		.amdhsa_next_free_sgpr 32
		.amdhsa_reserve_vcc 1
		.amdhsa_float_round_mode_32 0
		.amdhsa_float_round_mode_16_64 0
		.amdhsa_float_denorm_mode_32 3
		.amdhsa_float_denorm_mode_16_64 3
		.amdhsa_fp16_overflow 0
		.amdhsa_workgroup_processor_mode 1
		.amdhsa_memory_ordered 1
		.amdhsa_forward_progress 1
		.amdhsa_inst_pref_size 9
		.amdhsa_round_robin_scheduling 0
		.amdhsa_exception_fp_ieee_invalid_op 0
		.amdhsa_exception_fp_denorm_src 0
		.amdhsa_exception_fp_ieee_div_zero 0
		.amdhsa_exception_fp_ieee_overflow 0
		.amdhsa_exception_fp_ieee_underflow 0
		.amdhsa_exception_fp_ieee_inexact 0
		.amdhsa_exception_int_div_zero 0
	.end_amdhsa_kernel
	.section	.text._ZL18rocblas_ger_kernelILi32ELi32ELi2ELb0EddPKPKdPKPdEviiT4_lT5_lllS8_lllT6_lmli,"axG",@progbits,_ZL18rocblas_ger_kernelILi32ELi32ELi2ELb0EddPKPKdPKPdEviiT4_lT5_lllS8_lllT6_lmli,comdat
.Lfunc_end47:
	.size	_ZL18rocblas_ger_kernelILi32ELi32ELi2ELb0EddPKPKdPKPdEviiT4_lT5_lllS8_lllT6_lmli, .Lfunc_end47-_ZL18rocblas_ger_kernelILi32ELi32ELi2ELb0EddPKPKdPKPdEviiT4_lT5_lllS8_lllT6_lmli
                                        ; -- End function
	.set _ZL18rocblas_ger_kernelILi32ELi32ELi2ELb0EddPKPKdPKPdEviiT4_lT5_lllS8_lllT6_lmli.num_vgpr, 23
	.set _ZL18rocblas_ger_kernelILi32ELi32ELi2ELb0EddPKPKdPKPdEviiT4_lT5_lllS8_lllT6_lmli.num_agpr, 0
	.set _ZL18rocblas_ger_kernelILi32ELi32ELi2ELb0EddPKPKdPKPdEviiT4_lT5_lllS8_lllT6_lmli.numbered_sgpr, 32
	.set _ZL18rocblas_ger_kernelILi32ELi32ELi2ELb0EddPKPKdPKPdEviiT4_lT5_lllS8_lllT6_lmli.num_named_barrier, 0
	.set _ZL18rocblas_ger_kernelILi32ELi32ELi2ELb0EddPKPKdPKPdEviiT4_lT5_lllS8_lllT6_lmli.private_seg_size, 0
	.set _ZL18rocblas_ger_kernelILi32ELi32ELi2ELb0EddPKPKdPKPdEviiT4_lT5_lllS8_lllT6_lmli.uses_vcc, 1
	.set _ZL18rocblas_ger_kernelILi32ELi32ELi2ELb0EddPKPKdPKPdEviiT4_lT5_lllS8_lllT6_lmli.uses_flat_scratch, 0
	.set _ZL18rocblas_ger_kernelILi32ELi32ELi2ELb0EddPKPKdPKPdEviiT4_lT5_lllS8_lllT6_lmli.has_dyn_sized_stack, 0
	.set _ZL18rocblas_ger_kernelILi32ELi32ELi2ELb0EddPKPKdPKPdEviiT4_lT5_lllS8_lllT6_lmli.has_recursion, 0
	.set _ZL18rocblas_ger_kernelILi32ELi32ELi2ELb0EddPKPKdPKPdEviiT4_lT5_lllS8_lllT6_lmli.has_indirect_call, 0
	.section	.AMDGPU.csdata,"",@progbits
; Kernel info:
; codeLenInByte = 1044
; TotalNumSgprs: 34
; NumVgprs: 23
; ScratchSize: 0
; MemoryBound: 0
; FloatMode: 240
; IeeeMode: 1
; LDSByteSize: 768 bytes/workgroup (compile time only)
; SGPRBlocks: 0
; VGPRBlocks: 2
; NumSGPRsForWavesPerEU: 34
; NumVGPRsForWavesPerEU: 23
; Occupancy: 16
; WaveLimiterHint : 1
; COMPUTE_PGM_RSRC2:SCRATCH_EN: 0
; COMPUTE_PGM_RSRC2:USER_SGPR: 2
; COMPUTE_PGM_RSRC2:TRAP_HANDLER: 0
; COMPUTE_PGM_RSRC2:TGID_X_EN: 1
; COMPUTE_PGM_RSRC2:TGID_Y_EN: 0
; COMPUTE_PGM_RSRC2:TGID_Z_EN: 1
; COMPUTE_PGM_RSRC2:TIDIG_COMP_CNT: 1
	.section	.text._ZL34rocblas_ger_double_buffered_kernelILb0ELi64ELi16ELi2E19rocblas_complex_numIfE24rocblas_internal_val_ptrIS1_EPKPKS1_PKPS1_EvbiiT4_lT5_lllSC_lllT6_lmli,"axG",@progbits,_ZL34rocblas_ger_double_buffered_kernelILb0ELi64ELi16ELi2E19rocblas_complex_numIfE24rocblas_internal_val_ptrIS1_EPKPKS1_PKPS1_EvbiiT4_lT5_lllSC_lllT6_lmli,comdat
	.globl	_ZL34rocblas_ger_double_buffered_kernelILb0ELi64ELi16ELi2E19rocblas_complex_numIfE24rocblas_internal_val_ptrIS1_EPKPKS1_PKPS1_EvbiiT4_lT5_lllSC_lllT6_lmli ; -- Begin function _ZL34rocblas_ger_double_buffered_kernelILb0ELi64ELi16ELi2E19rocblas_complex_numIfE24rocblas_internal_val_ptrIS1_EPKPKS1_PKPS1_EvbiiT4_lT5_lllSC_lllT6_lmli
	.p2align	8
	.type	_ZL34rocblas_ger_double_buffered_kernelILb0ELi64ELi16ELi2E19rocblas_complex_numIfE24rocblas_internal_val_ptrIS1_EPKPKS1_PKPS1_EvbiiT4_lT5_lllSC_lllT6_lmli,@function
_ZL34rocblas_ger_double_buffered_kernelILb0ELi64ELi16ELi2E19rocblas_complex_numIfE24rocblas_internal_val_ptrIS1_EPKPKS1_PKPS1_EvbiiT4_lT5_lllSC_lllT6_lmli: ; @_ZL34rocblas_ger_double_buffered_kernelILb0ELi64ELi16ELi2E19rocblas_complex_numIfE24rocblas_internal_val_ptrIS1_EPKPKS1_PKPS1_EvbiiT4_lT5_lllSC_lllT6_lmli
; %bb.0:
	s_load_b32 s30, s[0:1], 0x80
	s_lshr_b32 s2, ttmp7, 16
	s_wait_kmcnt 0x0
	s_cmp_ge_u32 s2, s30
	s_cbranch_scc1 .LBB48_8
; %bb.1:
	s_load_b128 s[12:15], s[0:1], 0x28
	v_and_b32_e32 v17, 31, v0
	v_lshrrev_b32_e32 v1, 4, v0
	s_clause 0x6
	s_load_b128 s[8:11], s[0:1], 0x68
	s_load_b64 s[20:21], s[0:1], 0x60
	s_load_b64 s[22:23], s[0:1], 0x20
	;; [unrolled: 1-line block ×3, first 2 shown]
	s_load_b128 s[16:19], s[0:1], 0x48
	s_load_b32 s26, s[0:1], 0x0
	s_load_b128 s[4:7], s[0:1], 0x10
	v_or_b32_e32 v12, 32, v17
	v_and_b32_e32 v1, 0xffc0, v1
	s_mov_b32 s3, 0
	s_delay_alu instid0(SALU_CYCLE_1) | instskip(SKIP_4) | instid1(VALU_DEP_1)
	s_mov_b32 s1, s3
	s_wait_kmcnt 0x0
	v_mad_co_u64_u32 v[6:7], null, s14, v12, 0
	v_and_b32_e32 v2, 0x3ff, v0
	s_bitcmp1_b32 s26, 0
	v_add_nc_u32_e32 v1, v1, v2
	s_cselect_b32 s31, -1, 0
	s_and_b32 s0, ttmp7, 0xffff
	s_lshl_b32 s26, ttmp9, 6
	s_lshl_b32 s0, s0, 6
	v_lshrrev_b32_e32 v2, 4, v1
	v_mad_co_u64_u32 v[0:1], null, s14, v17, 0
	s_mul_u64 s[28:29], s[10:11], s[0:1]
	s_mul_u64 s[36:37], s[18:19], s[0:1]
	v_and_b32_e32 v15, 0x1ffe, v2
	v_or_b32_e32 v16, 1, v2
	s_xor_b32 s0, s31, -1
	s_ashr_i32 s27, s26, 31
	s_lshl_b64 s[8:9], s[8:9], 3
	v_mad_co_u64_u32 v[4:5], null, s10, v15, 0
	v_mad_co_u64_u32 v[8:9], null, s18, v15, 0
	;; [unrolled: 1-line block ×3, first 2 shown]
	s_mul_u64 s[34:35], s[14:15], s[26:27]
	s_lshl_b64 s[12:13], s[12:13], 3
	v_dual_mov_b32 v2, v5 :: v_dual_mov_b32 v5, v11
	s_delay_alu instid0(VALU_DEP_1) | instskip(SKIP_2) | instid1(VALU_DEP_1)
	v_mad_co_u64_u32 v[2:3], null, s11, v15, v[2:3]
	v_mov_b32_e32 v3, v7
	s_lshl_b64 s[10:11], s[10:11], 3
	v_mad_co_u64_u32 v[11:12], null, s15, v12, v[3:4]
	s_delay_alu instid0(VALU_DEP_3) | instskip(SKIP_3) | instid1(VALU_DEP_3)
	v_mad_co_u64_u32 v[13:14], null, s15, v17, v[1:2]
	v_dual_mov_b32 v1, v9 :: v_dual_mov_b32 v12, 0
	s_lshl_b64 s[14:15], s[16:17], 3
	s_lshl_b64 s[16:17], s[26:27], 3
	v_mov_b32_e32 v7, v11
	s_delay_alu instid0(VALU_DEP_2)
	v_mad_co_u64_u32 v[14:15], null, s19, v15, v[1:2]
	v_mad_co_u64_u32 v[15:16], null, s19, v16, v[5:6]
	v_mov_b32_e32 v5, v2
	v_cndmask_b32_e64 v2, 0, 1, s0
	v_mov_b32_e32 v1, v13
	v_lshlrev_b32_e32 v13, 3, v17
	v_mov_b32_e32 v9, v14
	v_lshlrev_b64_e32 v[4:5], 3, v[4:5]
	v_mov_b32_e32 v11, v15
	v_cmp_ne_u32_e64 s0, 1, v2
	v_lshlrev_b64_e32 v[0:1], 3, v[0:1]
	v_lshlrev_b64_e32 v[2:3], 3, v[6:7]
	;; [unrolled: 1-line block ×4, first 2 shown]
	s_lshl_b64 s[18:19], s[28:29], 3
	s_lshl_b64 s[26:27], s[34:35], 3
	;; [unrolled: 1-line block ×3, first 2 shown]
	s_branch .LBB48_3
.LBB48_2:                               ;   in Loop: Header=BB48_3 Depth=1
	s_add_co_i32 s2, s2, 0x10000
	s_delay_alu instid0(SALU_CYCLE_1)
	s_cmp_lt_u32 s2, s30
	s_cbranch_scc0 .LBB48_8
.LBB48_3:                               ; =>This Inner Loop Header: Depth=1
	s_and_b32 vcc_lo, exec_lo, s0
	s_wait_alu 0xfffe
	s_cbranch_vccnz .LBB48_5
; %bb.4:                                ;   in Loop: Header=BB48_3 Depth=1
	s_mul_u64 s[34:35], s[6:7], s[2:3]
	s_wait_alu 0xfffe
	s_lshl_b64 s[34:35], s[34:35], 3
	s_wait_alu 0xfffe
	s_add_nc_u64 s[34:35], s[4:5], s[34:35]
	global_load_b64 v[10:11], v12, s[34:35]
	s_branch .LBB48_6
.LBB48_5:                               ;   in Loop: Header=BB48_3 Depth=1
	v_dual_mov_b32 v11, s5 :: v_dual_mov_b32 v10, s4
.LBB48_6:                               ;   in Loop: Header=BB48_3 Depth=1
	s_wait_loadcnt 0x0
	s_delay_alu instid0(VALU_DEP_1) | instskip(NEXT) | instid1(VALU_DEP_2)
	v_cmp_neq_f32_e32 vcc_lo, 0, v10
	v_cmp_neq_f32_e64 s1, 0, v11
	s_or_b32 s1, vcc_lo, s1
	s_wait_alu 0xfffe
	s_and_not1_b32 vcc_lo, exec_lo, s1
	s_wait_alu 0xfffe
	s_cbranch_vccnz .LBB48_2
; %bb.7:                                ;   in Loop: Header=BB48_3 Depth=1
	s_lshl_b64 s[34:35], s[2:3], 3
	s_wait_alu 0xfffe
	s_add_nc_u64 s[36:37], s[20:21], s[34:35]
	s_add_nc_u64 s[38:39], s[24:25], s[34:35]
	;; [unrolled: 1-line block ×3, first 2 shown]
	s_load_b64 s[36:37], s[36:37], 0x0
	s_load_b64 s[34:35], s[34:35], 0x0
	;; [unrolled: 1-line block ×3, first 2 shown]
	s_wait_kmcnt 0x0
	s_add_nc_u64 s[36:37], s[36:37], s[8:9]
	s_add_nc_u64 s[34:35], s[34:35], s[12:13]
	;; [unrolled: 1-line block ×3, first 2 shown]
	s_wait_alu 0xfffe
	s_add_nc_u64 s[34:35], s[34:35], s[26:27]
	s_add_nc_u64 s[38:39], s[38:39], s[28:29]
	s_wait_alu 0xfffe
	v_add_co_u32 v14, vcc_lo, s34, v0
	s_wait_alu 0xfffd
	v_add_co_ci_u32_e64 v15, null, s35, v1, vcc_lo
	v_add_co_u32 v16, vcc_lo, s34, v2
	s_wait_alu 0xfffd
	v_add_co_ci_u32_e64 v17, null, s35, v3, vcc_lo
	s_clause 0x1
	flat_load_b64 v[14:15], v[14:15]
	flat_load_b64 v[16:17], v[16:17]
	v_add_co_u32 v18, vcc_lo, s38, v6
	s_add_nc_u64 s[34:35], s[36:37], s[16:17]
	s_wait_alu 0xfffd
	v_add_co_ci_u32_e64 v19, null, s39, v7, vcc_lo
	v_add_co_u32 v20, vcc_lo, s38, v8
	s_wait_alu 0xfffe
	s_add_nc_u64 s[34:35], s[34:35], s[18:19]
	s_wait_alu 0xfffd
	v_add_co_ci_u32_e64 v21, null, s39, v9, vcc_lo
	s_wait_alu 0xfffe
	v_add_co_u32 v22, vcc_lo, s34, v4
	s_wait_alu 0xfffd
	v_add_co_ci_u32_e64 v23, null, s35, v5, vcc_lo
	s_clause 0x1
	flat_load_b64 v[18:19], v[18:19]
	flat_load_b64 v[20:21], v[20:21]
	v_add_co_u32 v22, vcc_lo, v22, v13
	s_wait_alu 0xfffd
	v_add_co_ci_u32_e64 v23, null, 0, v23, vcc_lo
	s_delay_alu instid0(VALU_DEP_2) | instskip(SKIP_1) | instid1(VALU_DEP_2)
	v_add_co_u32 v24, vcc_lo, v22, s10
	s_wait_alu 0xfffd
	v_add_co_ci_u32_e64 v25, null, s11, v23, vcc_lo
	s_clause 0x3
	flat_load_b64 v[26:27], v[22:23]
	flat_load_b64 v[28:29], v[24:25]
	flat_load_b64 v[30:31], v[24:25] offset:256
	flat_load_b64 v[32:33], v[22:23] offset:256
	s_wait_loadcnt_dscnt 0x606
	v_dual_mul_f32 v34, v10, v15 :: v_dual_mul_f32 v35, v11, v17
	s_delay_alu instid0(VALU_DEP_1) | instskip(SKIP_1) | instid1(VALU_DEP_2)
	v_dual_mul_f32 v17, v10, v17 :: v_dual_fmac_f32 v34, v11, v14
	v_mul_f32_e32 v15, v11, v15
	v_fmac_f32_e32 v17, v11, v16
	s_delay_alu instid0(VALU_DEP_2)
	v_fma_f32 v14, v10, v14, -v15
	v_fma_f32 v10, v10, v16, -v35
	s_wait_loadcnt_dscnt 0x505
	v_mul_f32_e32 v11, v34, v19
	s_wait_loadcnt_dscnt 0x404
	v_mul_f32_e32 v16, v34, v21
	v_dual_mul_f32 v35, v14, v21 :: v_dual_mul_f32 v36, v17, v19
	v_mul_f32_e32 v15, v14, v19
	v_fma_f32 v11, v14, v18, -v11
	s_delay_alu instid0(VALU_DEP_4)
	v_fma_f32 v14, v14, v20, -v16
	v_mul_f32_e32 v19, v10, v19
	v_fma_f32 v16, v10, v18, -v36
	v_mul_f32_e32 v37, v17, v21
	v_mul_f32_e32 v21, v10, v21
	v_fmac_f32_e32 v35, v34, v20
	s_wait_loadcnt_dscnt 0x0
	v_dual_fmac_f32 v19, v17, v18 :: v_dual_add_f32 v16, v32, v16
	v_fmac_f32_e32 v15, v34, v18
	v_fma_f32 v18, v10, v20, -v37
	v_dual_add_f32 v10, v26, v11 :: v_dual_fmac_f32 v21, v17, v20
	s_delay_alu instid0(VALU_DEP_3) | instskip(SKIP_1) | instid1(VALU_DEP_4)
	v_dual_add_f32 v14, v28, v14 :: v_dual_add_f32 v11, v15, v27
	v_add_f32_e32 v15, v35, v29
	v_dual_add_f32 v17, v19, v33 :: v_dual_add_f32 v18, v30, v18
	s_delay_alu instid0(VALU_DEP_4)
	v_add_f32_e32 v19, v21, v31
	s_clause 0x3
	flat_store_b64 v[22:23], v[10:11]
	flat_store_b64 v[24:25], v[14:15]
	flat_store_b64 v[22:23], v[16:17] offset:256
	flat_store_b64 v[24:25], v[18:19] offset:256
	s_branch .LBB48_2
.LBB48_8:
	s_endpgm
	.section	.rodata,"a",@progbits
	.p2align	6, 0x0
	.amdhsa_kernel _ZL34rocblas_ger_double_buffered_kernelILb0ELi64ELi16ELi2E19rocblas_complex_numIfE24rocblas_internal_val_ptrIS1_EPKPKS1_PKPS1_EvbiiT4_lT5_lllSC_lllT6_lmli
		.amdhsa_group_segment_fixed_size 0
		.amdhsa_private_segment_fixed_size 0
		.amdhsa_kernarg_size 132
		.amdhsa_user_sgpr_count 2
		.amdhsa_user_sgpr_dispatch_ptr 0
		.amdhsa_user_sgpr_queue_ptr 0
		.amdhsa_user_sgpr_kernarg_segment_ptr 1
		.amdhsa_user_sgpr_dispatch_id 0
		.amdhsa_user_sgpr_private_segment_size 0
		.amdhsa_wavefront_size32 1
		.amdhsa_uses_dynamic_stack 0
		.amdhsa_enable_private_segment 0
		.amdhsa_system_sgpr_workgroup_id_x 1
		.amdhsa_system_sgpr_workgroup_id_y 1
		.amdhsa_system_sgpr_workgroup_id_z 1
		.amdhsa_system_sgpr_workgroup_info 0
		.amdhsa_system_vgpr_workitem_id 1
		.amdhsa_next_free_vgpr 38
		.amdhsa_next_free_sgpr 40
		.amdhsa_reserve_vcc 1
		.amdhsa_float_round_mode_32 0
		.amdhsa_float_round_mode_16_64 0
		.amdhsa_float_denorm_mode_32 3
		.amdhsa_float_denorm_mode_16_64 3
		.amdhsa_fp16_overflow 0
		.amdhsa_workgroup_processor_mode 1
		.amdhsa_memory_ordered 1
		.amdhsa_forward_progress 1
		.amdhsa_inst_pref_size 9
		.amdhsa_round_robin_scheduling 0
		.amdhsa_exception_fp_ieee_invalid_op 0
		.amdhsa_exception_fp_denorm_src 0
		.amdhsa_exception_fp_ieee_div_zero 0
		.amdhsa_exception_fp_ieee_overflow 0
		.amdhsa_exception_fp_ieee_underflow 0
		.amdhsa_exception_fp_ieee_inexact 0
		.amdhsa_exception_int_div_zero 0
	.end_amdhsa_kernel
	.section	.text._ZL34rocblas_ger_double_buffered_kernelILb0ELi64ELi16ELi2E19rocblas_complex_numIfE24rocblas_internal_val_ptrIS1_EPKPKS1_PKPS1_EvbiiT4_lT5_lllSC_lllT6_lmli,"axG",@progbits,_ZL34rocblas_ger_double_buffered_kernelILb0ELi64ELi16ELi2E19rocblas_complex_numIfE24rocblas_internal_val_ptrIS1_EPKPKS1_PKPS1_EvbiiT4_lT5_lllSC_lllT6_lmli,comdat
.Lfunc_end48:
	.size	_ZL34rocblas_ger_double_buffered_kernelILb0ELi64ELi16ELi2E19rocblas_complex_numIfE24rocblas_internal_val_ptrIS1_EPKPKS1_PKPS1_EvbiiT4_lT5_lllSC_lllT6_lmli, .Lfunc_end48-_ZL34rocblas_ger_double_buffered_kernelILb0ELi64ELi16ELi2E19rocblas_complex_numIfE24rocblas_internal_val_ptrIS1_EPKPKS1_PKPS1_EvbiiT4_lT5_lllSC_lllT6_lmli
                                        ; -- End function
	.set _ZL34rocblas_ger_double_buffered_kernelILb0ELi64ELi16ELi2E19rocblas_complex_numIfE24rocblas_internal_val_ptrIS1_EPKPKS1_PKPS1_EvbiiT4_lT5_lllSC_lllT6_lmli.num_vgpr, 38
	.set _ZL34rocblas_ger_double_buffered_kernelILb0ELi64ELi16ELi2E19rocblas_complex_numIfE24rocblas_internal_val_ptrIS1_EPKPKS1_PKPS1_EvbiiT4_lT5_lllSC_lllT6_lmli.num_agpr, 0
	.set _ZL34rocblas_ger_double_buffered_kernelILb0ELi64ELi16ELi2E19rocblas_complex_numIfE24rocblas_internal_val_ptrIS1_EPKPKS1_PKPS1_EvbiiT4_lT5_lllSC_lllT6_lmli.numbered_sgpr, 40
	.set _ZL34rocblas_ger_double_buffered_kernelILb0ELi64ELi16ELi2E19rocblas_complex_numIfE24rocblas_internal_val_ptrIS1_EPKPKS1_PKPS1_EvbiiT4_lT5_lllSC_lllT6_lmli.num_named_barrier, 0
	.set _ZL34rocblas_ger_double_buffered_kernelILb0ELi64ELi16ELi2E19rocblas_complex_numIfE24rocblas_internal_val_ptrIS1_EPKPKS1_PKPS1_EvbiiT4_lT5_lllSC_lllT6_lmli.private_seg_size, 0
	.set _ZL34rocblas_ger_double_buffered_kernelILb0ELi64ELi16ELi2E19rocblas_complex_numIfE24rocblas_internal_val_ptrIS1_EPKPKS1_PKPS1_EvbiiT4_lT5_lllSC_lllT6_lmli.uses_vcc, 1
	.set _ZL34rocblas_ger_double_buffered_kernelILb0ELi64ELi16ELi2E19rocblas_complex_numIfE24rocblas_internal_val_ptrIS1_EPKPKS1_PKPS1_EvbiiT4_lT5_lllSC_lllT6_lmli.uses_flat_scratch, 1
	.set _ZL34rocblas_ger_double_buffered_kernelILb0ELi64ELi16ELi2E19rocblas_complex_numIfE24rocblas_internal_val_ptrIS1_EPKPKS1_PKPS1_EvbiiT4_lT5_lllSC_lllT6_lmli.has_dyn_sized_stack, 0
	.set _ZL34rocblas_ger_double_buffered_kernelILb0ELi64ELi16ELi2E19rocblas_complex_numIfE24rocblas_internal_val_ptrIS1_EPKPKS1_PKPS1_EvbiiT4_lT5_lllSC_lllT6_lmli.has_recursion, 0
	.set _ZL34rocblas_ger_double_buffered_kernelILb0ELi64ELi16ELi2E19rocblas_complex_numIfE24rocblas_internal_val_ptrIS1_EPKPKS1_PKPS1_EvbiiT4_lT5_lllSC_lllT6_lmli.has_indirect_call, 0
	.section	.AMDGPU.csdata,"",@progbits
; Kernel info:
; codeLenInByte = 1116
; TotalNumSgprs: 42
; NumVgprs: 38
; ScratchSize: 0
; MemoryBound: 0
; FloatMode: 240
; IeeeMode: 1
; LDSByteSize: 0 bytes/workgroup (compile time only)
; SGPRBlocks: 0
; VGPRBlocks: 4
; NumSGPRsForWavesPerEU: 42
; NumVGPRsForWavesPerEU: 38
; Occupancy: 16
; WaveLimiterHint : 1
; COMPUTE_PGM_RSRC2:SCRATCH_EN: 0
; COMPUTE_PGM_RSRC2:USER_SGPR: 2
; COMPUTE_PGM_RSRC2:TRAP_HANDLER: 0
; COMPUTE_PGM_RSRC2:TGID_X_EN: 1
; COMPUTE_PGM_RSRC2:TGID_Y_EN: 1
; COMPUTE_PGM_RSRC2:TGID_Z_EN: 1
; COMPUTE_PGM_RSRC2:TIDIG_COMP_CNT: 1
	.section	.text._ZL26rocblas_sger_gfx942_kernelILi256E19rocblas_complex_numIfEPKS1_PKS3_PKPS1_EviiT1_lT2_lllSA_lllT3_lll,"axG",@progbits,_ZL26rocblas_sger_gfx942_kernelILi256E19rocblas_complex_numIfEPKS1_PKS3_PKPS1_EviiT1_lT2_lllSA_lllT3_lll,comdat
	.globl	_ZL26rocblas_sger_gfx942_kernelILi256E19rocblas_complex_numIfEPKS1_PKS3_PKPS1_EviiT1_lT2_lllSA_lllT3_lll ; -- Begin function _ZL26rocblas_sger_gfx942_kernelILi256E19rocblas_complex_numIfEPKS1_PKS3_PKPS1_EviiT1_lT2_lllSA_lllT3_lll
	.p2align	8
	.type	_ZL26rocblas_sger_gfx942_kernelILi256E19rocblas_complex_numIfEPKS1_PKS3_PKPS1_EviiT1_lT2_lllSA_lllT3_lll,@function
_ZL26rocblas_sger_gfx942_kernelILi256E19rocblas_complex_numIfEPKS1_PKS3_PKPS1_EviiT1_lT2_lllSA_lllT3_lll: ; @_ZL26rocblas_sger_gfx942_kernelILi256E19rocblas_complex_numIfEPKS1_PKS3_PKPS1_EviiT1_lT2_lllSA_lllT3_lll
; %bb.0:
	s_endpgm
	.section	.rodata,"a",@progbits
	.p2align	6, 0x0
	.amdhsa_kernel _ZL26rocblas_sger_gfx942_kernelILi256E19rocblas_complex_numIfEPKS1_PKS3_PKPS1_EviiT1_lT2_lllSA_lllT3_lll
		.amdhsa_group_segment_fixed_size 0
		.amdhsa_private_segment_fixed_size 0
		.amdhsa_kernarg_size 120
		.amdhsa_user_sgpr_count 2
		.amdhsa_user_sgpr_dispatch_ptr 0
		.amdhsa_user_sgpr_queue_ptr 0
		.amdhsa_user_sgpr_kernarg_segment_ptr 1
		.amdhsa_user_sgpr_dispatch_id 0
		.amdhsa_user_sgpr_private_segment_size 0
		.amdhsa_wavefront_size32 1
		.amdhsa_uses_dynamic_stack 0
		.amdhsa_enable_private_segment 0
		.amdhsa_system_sgpr_workgroup_id_x 1
		.amdhsa_system_sgpr_workgroup_id_y 0
		.amdhsa_system_sgpr_workgroup_id_z 0
		.amdhsa_system_sgpr_workgroup_info 0
		.amdhsa_system_vgpr_workitem_id 0
		.amdhsa_next_free_vgpr 1
		.amdhsa_next_free_sgpr 1
		.amdhsa_reserve_vcc 0
		.amdhsa_float_round_mode_32 0
		.amdhsa_float_round_mode_16_64 0
		.amdhsa_float_denorm_mode_32 3
		.amdhsa_float_denorm_mode_16_64 3
		.amdhsa_fp16_overflow 0
		.amdhsa_workgroup_processor_mode 1
		.amdhsa_memory_ordered 1
		.amdhsa_forward_progress 1
		.amdhsa_inst_pref_size 1
		.amdhsa_round_robin_scheduling 0
		.amdhsa_exception_fp_ieee_invalid_op 0
		.amdhsa_exception_fp_denorm_src 0
		.amdhsa_exception_fp_ieee_div_zero 0
		.amdhsa_exception_fp_ieee_overflow 0
		.amdhsa_exception_fp_ieee_underflow 0
		.amdhsa_exception_fp_ieee_inexact 0
		.amdhsa_exception_int_div_zero 0
	.end_amdhsa_kernel
	.section	.text._ZL26rocblas_sger_gfx942_kernelILi256E19rocblas_complex_numIfEPKS1_PKS3_PKPS1_EviiT1_lT2_lllSA_lllT3_lll,"axG",@progbits,_ZL26rocblas_sger_gfx942_kernelILi256E19rocblas_complex_numIfEPKS1_PKS3_PKPS1_EviiT1_lT2_lllSA_lllT3_lll,comdat
.Lfunc_end49:
	.size	_ZL26rocblas_sger_gfx942_kernelILi256E19rocblas_complex_numIfEPKS1_PKS3_PKPS1_EviiT1_lT2_lllSA_lllT3_lll, .Lfunc_end49-_ZL26rocblas_sger_gfx942_kernelILi256E19rocblas_complex_numIfEPKS1_PKS3_PKPS1_EviiT1_lT2_lllSA_lllT3_lll
                                        ; -- End function
	.set _ZL26rocblas_sger_gfx942_kernelILi256E19rocblas_complex_numIfEPKS1_PKS3_PKPS1_EviiT1_lT2_lllSA_lllT3_lll.num_vgpr, 0
	.set _ZL26rocblas_sger_gfx942_kernelILi256E19rocblas_complex_numIfEPKS1_PKS3_PKPS1_EviiT1_lT2_lllSA_lllT3_lll.num_agpr, 0
	.set _ZL26rocblas_sger_gfx942_kernelILi256E19rocblas_complex_numIfEPKS1_PKS3_PKPS1_EviiT1_lT2_lllSA_lllT3_lll.numbered_sgpr, 0
	.set _ZL26rocblas_sger_gfx942_kernelILi256E19rocblas_complex_numIfEPKS1_PKS3_PKPS1_EviiT1_lT2_lllSA_lllT3_lll.num_named_barrier, 0
	.set _ZL26rocblas_sger_gfx942_kernelILi256E19rocblas_complex_numIfEPKS1_PKS3_PKPS1_EviiT1_lT2_lllSA_lllT3_lll.private_seg_size, 0
	.set _ZL26rocblas_sger_gfx942_kernelILi256E19rocblas_complex_numIfEPKS1_PKS3_PKPS1_EviiT1_lT2_lllSA_lllT3_lll.uses_vcc, 0
	.set _ZL26rocblas_sger_gfx942_kernelILi256E19rocblas_complex_numIfEPKS1_PKS3_PKPS1_EviiT1_lT2_lllSA_lllT3_lll.uses_flat_scratch, 0
	.set _ZL26rocblas_sger_gfx942_kernelILi256E19rocblas_complex_numIfEPKS1_PKS3_PKPS1_EviiT1_lT2_lllSA_lllT3_lll.has_dyn_sized_stack, 0
	.set _ZL26rocblas_sger_gfx942_kernelILi256E19rocblas_complex_numIfEPKS1_PKS3_PKPS1_EviiT1_lT2_lllSA_lllT3_lll.has_recursion, 0
	.set _ZL26rocblas_sger_gfx942_kernelILi256E19rocblas_complex_numIfEPKS1_PKS3_PKPS1_EviiT1_lT2_lllSA_lllT3_lll.has_indirect_call, 0
	.section	.AMDGPU.csdata,"",@progbits
; Kernel info:
; codeLenInByte = 4
; TotalNumSgprs: 0
; NumVgprs: 0
; ScratchSize: 0
; MemoryBound: 0
; FloatMode: 240
; IeeeMode: 1
; LDSByteSize: 0 bytes/workgroup (compile time only)
; SGPRBlocks: 0
; VGPRBlocks: 0
; NumSGPRsForWavesPerEU: 1
; NumVGPRsForWavesPerEU: 1
; Occupancy: 16
; WaveLimiterHint : 0
; COMPUTE_PGM_RSRC2:SCRATCH_EN: 0
; COMPUTE_PGM_RSRC2:USER_SGPR: 2
; COMPUTE_PGM_RSRC2:TRAP_HANDLER: 0
; COMPUTE_PGM_RSRC2:TGID_X_EN: 1
; COMPUTE_PGM_RSRC2:TGID_Y_EN: 0
; COMPUTE_PGM_RSRC2:TGID_Z_EN: 0
; COMPUTE_PGM_RSRC2:TIDIG_COMP_CNT: 0
	.section	.text._ZL26rocblas_sger_gfx942_kernelILi256E19rocblas_complex_numIfES1_PKPKS1_PKPS1_EviiT1_lT2_lllSA_lllT3_lll,"axG",@progbits,_ZL26rocblas_sger_gfx942_kernelILi256E19rocblas_complex_numIfES1_PKPKS1_PKPS1_EviiT1_lT2_lllSA_lllT3_lll,comdat
	.globl	_ZL26rocblas_sger_gfx942_kernelILi256E19rocblas_complex_numIfES1_PKPKS1_PKPS1_EviiT1_lT2_lllSA_lllT3_lll ; -- Begin function _ZL26rocblas_sger_gfx942_kernelILi256E19rocblas_complex_numIfES1_PKPKS1_PKPS1_EviiT1_lT2_lllSA_lllT3_lll
	.p2align	8
	.type	_ZL26rocblas_sger_gfx942_kernelILi256E19rocblas_complex_numIfES1_PKPKS1_PKPS1_EviiT1_lT2_lllSA_lllT3_lll,@function
_ZL26rocblas_sger_gfx942_kernelILi256E19rocblas_complex_numIfES1_PKPKS1_PKPS1_EviiT1_lT2_lllSA_lllT3_lll: ; @_ZL26rocblas_sger_gfx942_kernelILi256E19rocblas_complex_numIfES1_PKPKS1_PKPS1_EviiT1_lT2_lllSA_lllT3_lll
; %bb.0:
	s_endpgm
	.section	.rodata,"a",@progbits
	.p2align	6, 0x0
	.amdhsa_kernel _ZL26rocblas_sger_gfx942_kernelILi256E19rocblas_complex_numIfES1_PKPKS1_PKPS1_EviiT1_lT2_lllSA_lllT3_lll
		.amdhsa_group_segment_fixed_size 0
		.amdhsa_private_segment_fixed_size 0
		.amdhsa_kernarg_size 120
		.amdhsa_user_sgpr_count 2
		.amdhsa_user_sgpr_dispatch_ptr 0
		.amdhsa_user_sgpr_queue_ptr 0
		.amdhsa_user_sgpr_kernarg_segment_ptr 1
		.amdhsa_user_sgpr_dispatch_id 0
		.amdhsa_user_sgpr_private_segment_size 0
		.amdhsa_wavefront_size32 1
		.amdhsa_uses_dynamic_stack 0
		.amdhsa_enable_private_segment 0
		.amdhsa_system_sgpr_workgroup_id_x 1
		.amdhsa_system_sgpr_workgroup_id_y 0
		.amdhsa_system_sgpr_workgroup_id_z 0
		.amdhsa_system_sgpr_workgroup_info 0
		.amdhsa_system_vgpr_workitem_id 0
		.amdhsa_next_free_vgpr 1
		.amdhsa_next_free_sgpr 1
		.amdhsa_reserve_vcc 0
		.amdhsa_float_round_mode_32 0
		.amdhsa_float_round_mode_16_64 0
		.amdhsa_float_denorm_mode_32 3
		.amdhsa_float_denorm_mode_16_64 3
		.amdhsa_fp16_overflow 0
		.amdhsa_workgroup_processor_mode 1
		.amdhsa_memory_ordered 1
		.amdhsa_forward_progress 1
		.amdhsa_inst_pref_size 1
		.amdhsa_round_robin_scheduling 0
		.amdhsa_exception_fp_ieee_invalid_op 0
		.amdhsa_exception_fp_denorm_src 0
		.amdhsa_exception_fp_ieee_div_zero 0
		.amdhsa_exception_fp_ieee_overflow 0
		.amdhsa_exception_fp_ieee_underflow 0
		.amdhsa_exception_fp_ieee_inexact 0
		.amdhsa_exception_int_div_zero 0
	.end_amdhsa_kernel
	.section	.text._ZL26rocblas_sger_gfx942_kernelILi256E19rocblas_complex_numIfES1_PKPKS1_PKPS1_EviiT1_lT2_lllSA_lllT3_lll,"axG",@progbits,_ZL26rocblas_sger_gfx942_kernelILi256E19rocblas_complex_numIfES1_PKPKS1_PKPS1_EviiT1_lT2_lllSA_lllT3_lll,comdat
.Lfunc_end50:
	.size	_ZL26rocblas_sger_gfx942_kernelILi256E19rocblas_complex_numIfES1_PKPKS1_PKPS1_EviiT1_lT2_lllSA_lllT3_lll, .Lfunc_end50-_ZL26rocblas_sger_gfx942_kernelILi256E19rocblas_complex_numIfES1_PKPKS1_PKPS1_EviiT1_lT2_lllSA_lllT3_lll
                                        ; -- End function
	.set _ZL26rocblas_sger_gfx942_kernelILi256E19rocblas_complex_numIfES1_PKPKS1_PKPS1_EviiT1_lT2_lllSA_lllT3_lll.num_vgpr, 0
	.set _ZL26rocblas_sger_gfx942_kernelILi256E19rocblas_complex_numIfES1_PKPKS1_PKPS1_EviiT1_lT2_lllSA_lllT3_lll.num_agpr, 0
	.set _ZL26rocblas_sger_gfx942_kernelILi256E19rocblas_complex_numIfES1_PKPKS1_PKPS1_EviiT1_lT2_lllSA_lllT3_lll.numbered_sgpr, 0
	.set _ZL26rocblas_sger_gfx942_kernelILi256E19rocblas_complex_numIfES1_PKPKS1_PKPS1_EviiT1_lT2_lllSA_lllT3_lll.num_named_barrier, 0
	.set _ZL26rocblas_sger_gfx942_kernelILi256E19rocblas_complex_numIfES1_PKPKS1_PKPS1_EviiT1_lT2_lllSA_lllT3_lll.private_seg_size, 0
	.set _ZL26rocblas_sger_gfx942_kernelILi256E19rocblas_complex_numIfES1_PKPKS1_PKPS1_EviiT1_lT2_lllSA_lllT3_lll.uses_vcc, 0
	.set _ZL26rocblas_sger_gfx942_kernelILi256E19rocblas_complex_numIfES1_PKPKS1_PKPS1_EviiT1_lT2_lllSA_lllT3_lll.uses_flat_scratch, 0
	.set _ZL26rocblas_sger_gfx942_kernelILi256E19rocblas_complex_numIfES1_PKPKS1_PKPS1_EviiT1_lT2_lllSA_lllT3_lll.has_dyn_sized_stack, 0
	.set _ZL26rocblas_sger_gfx942_kernelILi256E19rocblas_complex_numIfES1_PKPKS1_PKPS1_EviiT1_lT2_lllSA_lllT3_lll.has_recursion, 0
	.set _ZL26rocblas_sger_gfx942_kernelILi256E19rocblas_complex_numIfES1_PKPKS1_PKPS1_EviiT1_lT2_lllSA_lllT3_lll.has_indirect_call, 0
	.section	.AMDGPU.csdata,"",@progbits
; Kernel info:
; codeLenInByte = 4
; TotalNumSgprs: 0
; NumVgprs: 0
; ScratchSize: 0
; MemoryBound: 0
; FloatMode: 240
; IeeeMode: 1
; LDSByteSize: 0 bytes/workgroup (compile time only)
; SGPRBlocks: 0
; VGPRBlocks: 0
; NumSGPRsForWavesPerEU: 1
; NumVGPRsForWavesPerEU: 1
; Occupancy: 16
; WaveLimiterHint : 0
; COMPUTE_PGM_RSRC2:SCRATCH_EN: 0
; COMPUTE_PGM_RSRC2:USER_SGPR: 2
; COMPUTE_PGM_RSRC2:TRAP_HANDLER: 0
; COMPUTE_PGM_RSRC2:TGID_X_EN: 1
; COMPUTE_PGM_RSRC2:TGID_Y_EN: 0
; COMPUTE_PGM_RSRC2:TGID_Z_EN: 0
; COMPUTE_PGM_RSRC2:TIDIG_COMP_CNT: 0
	.section	.text._ZL19rocblas_sger_kernelILi1024E19rocblas_complex_numIfEPKS1_PKS3_PKPS1_EviiT1_lT2_lllSA_lllT3_lmli,"axG",@progbits,_ZL19rocblas_sger_kernelILi1024E19rocblas_complex_numIfEPKS1_PKS3_PKPS1_EviiT1_lT2_lllSA_lllT3_lmli,comdat
	.globl	_ZL19rocblas_sger_kernelILi1024E19rocblas_complex_numIfEPKS1_PKS3_PKPS1_EviiT1_lT2_lllSA_lllT3_lmli ; -- Begin function _ZL19rocblas_sger_kernelILi1024E19rocblas_complex_numIfEPKS1_PKS3_PKPS1_EviiT1_lT2_lllSA_lllT3_lmli
	.p2align	8
	.type	_ZL19rocblas_sger_kernelILi1024E19rocblas_complex_numIfEPKS1_PKS3_PKPS1_EviiT1_lT2_lllSA_lllT3_lmli,@function
_ZL19rocblas_sger_kernelILi1024E19rocblas_complex_numIfEPKS1_PKS3_PKPS1_EviiT1_lT2_lllSA_lllT3_lmli: ; @_ZL19rocblas_sger_kernelILi1024E19rocblas_complex_numIfEPKS1_PKS3_PKPS1_EviiT1_lT2_lllSA_lllT3_lmli
; %bb.0:
	s_load_b32 s20, s[0:1], 0x78
	s_lshr_b32 s2, ttmp7, 16
	s_wait_kmcnt 0x0
	s_cmp_ge_u32 s2, s20
	s_cbranch_scc1 .LBB51_8
; %bb.1:
	s_clause 0x7
	s_load_b128 s[8:11], s[0:1], 0x20
	s_load_b32 s21, s[0:1], 0x0
	s_load_b128 s[24:27], s[0:1], 0x60
	s_load_b128 s[28:31], s[0:1], 0x40
	s_load_b64 s[12:13], s[0:1], 0x18
	s_load_b64 s[14:15], s[0:1], 0x58
	;; [unrolled: 1-line block ×3, first 2 shown]
	s_load_b128 s[4:7], s[0:1], 0x8
	s_mov_b32 s18, ttmp9
	s_ashr_i32 s19, ttmp9, 31
	v_mov_b32_e32 v7, 0
	s_mov_b32 s3, 0
	s_wait_kmcnt 0x0
	v_mad_co_u64_u32 v[1:2], null, s10, v0, 0
	v_cmp_gt_i32_e64 s0, s21, v0
	s_mul_u64 s[22:23], s[26:27], s[18:19]
	s_lshl_b64 s[24:25], s[24:25], 3
	s_lshl_b64 s[22:23], s[22:23], 3
	s_lshl_b64 s[8:9], s[8:9], 3
	s_add_nc_u64 s[22:23], s[22:23], s[24:25]
	v_mad_co_u64_u32 v[2:3], null, s11, v0, v[2:3]
	v_cndmask_b32_e64 v3, 0, v0, s0
	s_mul_u64 s[18:19], s[30:31], s[18:19]
	s_delay_alu instid0(SALU_CYCLE_1) | instskip(NEXT) | instid1(VALU_DEP_1)
	s_lshl_b64 s[18:19], s[18:19], 3
	v_lshlrev_b32_e32 v3, 3, v3
	s_delay_alu instid0(VALU_DEP_3) | instskip(NEXT) | instid1(VALU_DEP_2)
	v_lshlrev_b64_e32 v[1:2], 3, v[1:2]
	v_add_co_u32 v3, s1, s22, v3
	s_delay_alu instid0(VALU_DEP_2) | instskip(SKIP_2) | instid1(VALU_DEP_3)
	v_add_co_u32 v1, vcc_lo, v1, s8
	s_wait_alu 0xf1ff
	v_add_co_ci_u32_e64 v8, null, s23, 0, s1
	v_or_b32_e32 v9, 4, v3
	v_add_co_ci_u32_e64 v10, null, s9, v2, vcc_lo
	v_or_b32_e32 v11, 4, v1
	s_lshl_b64 s[8:9], s[10:11], 13
	s_lshl_b64 s[10:11], s[28:29], 3
	s_branch .LBB51_4
.LBB51_2:                               ;   in Loop: Header=BB51_4 Depth=1
	s_wait_alu 0xfffe
	s_or_b32 exec_lo, exec_lo, s22
.LBB51_3:                               ;   in Loop: Header=BB51_4 Depth=1
	s_add_co_i32 s2, s2, 0x10000
	s_delay_alu instid0(SALU_CYCLE_1)
	s_cmp_lt_u32 s2, s20
	s_cbranch_scc0 .LBB51_8
.LBB51_4:                               ; =>This Loop Header: Depth=1
                                        ;     Child Loop BB51_7 Depth 2
	s_mul_u64 s[22:23], s[6:7], s[2:3]
	s_wait_alu 0xfffe
	s_lshl_b64 s[22:23], s[22:23], 3
	s_wait_alu 0xfffe
	s_add_nc_u64 s[22:23], s[4:5], s[22:23]
	global_load_b64 v[5:6], v7, s[22:23]
	s_wait_loadcnt 0x0
	v_cmp_neq_f32_e32 vcc_lo, 0, v5
	v_cmp_neq_f32_e64 s1, 0, v6
	s_or_b32 s1, vcc_lo, s1
	s_wait_alu 0xfffe
	s_and_not1_b32 vcc_lo, exec_lo, s1
	s_wait_alu 0xfffe
	s_cbranch_vccnz .LBB51_3
; %bb.5:                                ;   in Loop: Header=BB51_4 Depth=1
	s_and_saveexec_b32 s22, s0
	s_cbranch_execz .LBB51_2
; %bb.6:                                ;   in Loop: Header=BB51_4 Depth=1
	s_lshl_b64 s[24:25], s[2:3], 3
	s_mov_b32 s23, 0
	s_wait_alu 0xfffe
	s_add_nc_u64 s[26:27], s[16:17], s[24:25]
	s_load_b64 s[26:27], s[26:27], 0x0
	s_wait_kmcnt 0x0
	s_add_nc_u64 s[26:27], s[26:27], s[10:11]
	s_wait_alu 0xfffe
	s_add_nc_u64 s[26:27], s[26:27], s[18:19]
	s_wait_alu 0xfffe
	v_dual_mov_b32 v1, s26 :: v_dual_mov_b32 v2, s27
	s_add_nc_u64 s[26:27], s[14:15], s[24:25]
	s_add_nc_u64 s[24:25], s[12:13], s[24:25]
	s_load_b64 s[26:27], s[26:27], 0x0
	s_load_b64 s[24:25], s[24:25], 0x0
	flat_load_b64 v[13:14], v[1:2]
	s_wait_kmcnt 0x0
	v_add_co_u32 v1, vcc_lo, s26, v9
	s_wait_alu 0xfffd
	v_add_co_ci_u32_e64 v2, null, s27, v8, vcc_lo
	v_add_co_u32 v3, vcc_lo, s24, v11
	s_wait_alu 0xfffd
	v_add_co_ci_u32_e64 v4, null, s25, v10, vcc_lo
	s_wait_loadcnt_dscnt 0x0
	v_mul_f32_e32 v15, v6, v14
	v_mul_f32_e32 v12, v5, v14
	s_delay_alu instid0(VALU_DEP_1) | instskip(SKIP_1) | instid1(VALU_DEP_4)
	v_fmac_f32_e32 v12, v6, v13
	v_mov_b32_e32 v6, v0
	v_fma_f32 v5, v5, v13, -v15
.LBB51_7:                               ;   Parent Loop BB51_4 Depth=1
                                        ; =>  This Inner Loop Header: Depth=2
	flat_load_b64 v[13:14], v[3:4] offset:-4
	flat_load_b64 v[15:16], v[1:2] offset:-4
	v_add_co_u32 v3, vcc_lo, v3, s8
	s_wait_alu 0xfffd
	v_add_co_ci_u32_e64 v4, null, s9, v4, vcc_lo
	s_wait_loadcnt_dscnt 0x101
	v_mul_f32_e32 v17, v12, v14
	v_mul_f32_e32 v14, v5, v14
	s_delay_alu instid0(VALU_DEP_1) | instskip(SKIP_1) | instid1(VALU_DEP_1)
	v_fmac_f32_e32 v14, v12, v13
	s_wait_loadcnt_dscnt 0x0
	v_add_f32_e32 v14, v14, v16
	v_fma_f32 v17, v5, v13, -v17
	s_delay_alu instid0(VALU_DEP_1) | instskip(NEXT) | instid1(VALU_DEP_1)
	v_dual_add_f32 v13, v15, v17 :: v_dual_add_nc_u32 v6, 0x400, v6
	v_cmp_le_i32_e32 vcc_lo, s21, v6
	flat_store_b64 v[1:2], v[13:14] offset:-4
	v_add_co_u32 v1, s1, 0x2000, v1
	s_wait_alu 0xf1ff
	v_add_co_ci_u32_e64 v2, null, 0, v2, s1
	s_or_b32 s23, vcc_lo, s23
	s_wait_alu 0xfffe
	s_and_not1_b32 exec_lo, exec_lo, s23
	s_cbranch_execnz .LBB51_7
	s_branch .LBB51_2
.LBB51_8:
	s_endpgm
	.section	.rodata,"a",@progbits
	.p2align	6, 0x0
	.amdhsa_kernel _ZL19rocblas_sger_kernelILi1024E19rocblas_complex_numIfEPKS1_PKS3_PKPS1_EviiT1_lT2_lllSA_lllT3_lmli
		.amdhsa_group_segment_fixed_size 0
		.amdhsa_private_segment_fixed_size 0
		.amdhsa_kernarg_size 124
		.amdhsa_user_sgpr_count 2
		.amdhsa_user_sgpr_dispatch_ptr 0
		.amdhsa_user_sgpr_queue_ptr 0
		.amdhsa_user_sgpr_kernarg_segment_ptr 1
		.amdhsa_user_sgpr_dispatch_id 0
		.amdhsa_user_sgpr_private_segment_size 0
		.amdhsa_wavefront_size32 1
		.amdhsa_uses_dynamic_stack 0
		.amdhsa_enable_private_segment 0
		.amdhsa_system_sgpr_workgroup_id_x 1
		.amdhsa_system_sgpr_workgroup_id_y 0
		.amdhsa_system_sgpr_workgroup_id_z 1
		.amdhsa_system_sgpr_workgroup_info 0
		.amdhsa_system_vgpr_workitem_id 0
		.amdhsa_next_free_vgpr 18
		.amdhsa_next_free_sgpr 32
		.amdhsa_reserve_vcc 1
		.amdhsa_float_round_mode_32 0
		.amdhsa_float_round_mode_16_64 0
		.amdhsa_float_denorm_mode_32 3
		.amdhsa_float_denorm_mode_16_64 3
		.amdhsa_fp16_overflow 0
		.amdhsa_workgroup_processor_mode 1
		.amdhsa_memory_ordered 1
		.amdhsa_forward_progress 1
		.amdhsa_inst_pref_size 6
		.amdhsa_round_robin_scheduling 0
		.amdhsa_exception_fp_ieee_invalid_op 0
		.amdhsa_exception_fp_denorm_src 0
		.amdhsa_exception_fp_ieee_div_zero 0
		.amdhsa_exception_fp_ieee_overflow 0
		.amdhsa_exception_fp_ieee_underflow 0
		.amdhsa_exception_fp_ieee_inexact 0
		.amdhsa_exception_int_div_zero 0
	.end_amdhsa_kernel
	.section	.text._ZL19rocblas_sger_kernelILi1024E19rocblas_complex_numIfEPKS1_PKS3_PKPS1_EviiT1_lT2_lllSA_lllT3_lmli,"axG",@progbits,_ZL19rocblas_sger_kernelILi1024E19rocblas_complex_numIfEPKS1_PKS3_PKPS1_EviiT1_lT2_lllSA_lllT3_lmli,comdat
.Lfunc_end51:
	.size	_ZL19rocblas_sger_kernelILi1024E19rocblas_complex_numIfEPKS1_PKS3_PKPS1_EviiT1_lT2_lllSA_lllT3_lmli, .Lfunc_end51-_ZL19rocblas_sger_kernelILi1024E19rocblas_complex_numIfEPKS1_PKS3_PKPS1_EviiT1_lT2_lllSA_lllT3_lmli
                                        ; -- End function
	.set _ZL19rocblas_sger_kernelILi1024E19rocblas_complex_numIfEPKS1_PKS3_PKPS1_EviiT1_lT2_lllSA_lllT3_lmli.num_vgpr, 18
	.set _ZL19rocblas_sger_kernelILi1024E19rocblas_complex_numIfEPKS1_PKS3_PKPS1_EviiT1_lT2_lllSA_lllT3_lmli.num_agpr, 0
	.set _ZL19rocblas_sger_kernelILi1024E19rocblas_complex_numIfEPKS1_PKS3_PKPS1_EviiT1_lT2_lllSA_lllT3_lmli.numbered_sgpr, 32
	.set _ZL19rocblas_sger_kernelILi1024E19rocblas_complex_numIfEPKS1_PKS3_PKPS1_EviiT1_lT2_lllSA_lllT3_lmli.num_named_barrier, 0
	.set _ZL19rocblas_sger_kernelILi1024E19rocblas_complex_numIfEPKS1_PKS3_PKPS1_EviiT1_lT2_lllSA_lllT3_lmli.private_seg_size, 0
	.set _ZL19rocblas_sger_kernelILi1024E19rocblas_complex_numIfEPKS1_PKS3_PKPS1_EviiT1_lT2_lllSA_lllT3_lmli.uses_vcc, 1
	.set _ZL19rocblas_sger_kernelILi1024E19rocblas_complex_numIfEPKS1_PKS3_PKPS1_EviiT1_lT2_lllSA_lllT3_lmli.uses_flat_scratch, 0
	.set _ZL19rocblas_sger_kernelILi1024E19rocblas_complex_numIfEPKS1_PKS3_PKPS1_EviiT1_lT2_lllSA_lllT3_lmli.has_dyn_sized_stack, 0
	.set _ZL19rocblas_sger_kernelILi1024E19rocblas_complex_numIfEPKS1_PKS3_PKPS1_EviiT1_lT2_lllSA_lllT3_lmli.has_recursion, 0
	.set _ZL19rocblas_sger_kernelILi1024E19rocblas_complex_numIfEPKS1_PKS3_PKPS1_EviiT1_lT2_lllSA_lllT3_lmli.has_indirect_call, 0
	.section	.AMDGPU.csdata,"",@progbits
; Kernel info:
; codeLenInByte = 676
; TotalNumSgprs: 34
; NumVgprs: 18
; ScratchSize: 0
; MemoryBound: 0
; FloatMode: 240
; IeeeMode: 1
; LDSByteSize: 0 bytes/workgroup (compile time only)
; SGPRBlocks: 0
; VGPRBlocks: 2
; NumSGPRsForWavesPerEU: 34
; NumVGPRsForWavesPerEU: 18
; Occupancy: 16
; WaveLimiterHint : 1
; COMPUTE_PGM_RSRC2:SCRATCH_EN: 0
; COMPUTE_PGM_RSRC2:USER_SGPR: 2
; COMPUTE_PGM_RSRC2:TRAP_HANDLER: 0
; COMPUTE_PGM_RSRC2:TGID_X_EN: 1
; COMPUTE_PGM_RSRC2:TGID_Y_EN: 0
; COMPUTE_PGM_RSRC2:TGID_Z_EN: 1
; COMPUTE_PGM_RSRC2:TIDIG_COMP_CNT: 0
	.section	.text._ZL19rocblas_sger_kernelILi1024E19rocblas_complex_numIfES1_PKPKS1_PKPS1_EviiT1_lT2_lllSA_lllT3_lmli,"axG",@progbits,_ZL19rocblas_sger_kernelILi1024E19rocblas_complex_numIfES1_PKPKS1_PKPS1_EviiT1_lT2_lllSA_lllT3_lmli,comdat
	.globl	_ZL19rocblas_sger_kernelILi1024E19rocblas_complex_numIfES1_PKPKS1_PKPS1_EviiT1_lT2_lllSA_lllT3_lmli ; -- Begin function _ZL19rocblas_sger_kernelILi1024E19rocblas_complex_numIfES1_PKPKS1_PKPS1_EviiT1_lT2_lllSA_lllT3_lmli
	.p2align	8
	.type	_ZL19rocblas_sger_kernelILi1024E19rocblas_complex_numIfES1_PKPKS1_PKPS1_EviiT1_lT2_lllSA_lllT3_lmli,@function
_ZL19rocblas_sger_kernelILi1024E19rocblas_complex_numIfES1_PKPKS1_PKPS1_EviiT1_lT2_lllSA_lllT3_lmli: ; @_ZL19rocblas_sger_kernelILi1024E19rocblas_complex_numIfES1_PKPKS1_PKPS1_EviiT1_lT2_lllSA_lllT3_lmli
; %bb.0:
	s_load_b32 s3, s[0:1], 0x78
	s_lshr_b32 s8, ttmp7, 16
	s_wait_kmcnt 0x0
	s_cmp_ge_u32 s8, s3
	s_cbranch_scc1 .LBB52_8
; %bb.1:
	s_clause 0x7
	s_load_b128 s[4:7], s[0:1], 0x20
	s_load_b64 s[10:11], s[0:1], 0x8
	s_load_b32 s20, s[0:1], 0x0
	s_load_b128 s[24:27], s[0:1], 0x60
	s_load_b64 s[12:13], s[0:1], 0x38
	s_load_b64 s[14:15], s[0:1], 0x18
	s_load_b128 s[28:31], s[0:1], 0x40
	s_load_b64 s[16:17], s[0:1], 0x58
	s_mov_b32 s18, ttmp9
	s_mov_b32 s9, 0
	s_wait_kmcnt 0x0
	v_mad_co_u64_u32 v[1:2], null, s6, v0, 0
	s_cmp_neq_f32 s10, 0
	v_cmp_gt_i32_e64 s2, s20, v0
	s_cselect_b32 s21, -1, 0
	s_cmp_neq_f32 s11, 0
	v_mad_co_u64_u32 v[2:3], null, s7, v0, v[2:3]
	v_cndmask_b32_e64 v4, 0, v0, s2
	s_cselect_b32 s33, -1, 0
	s_ashr_i32 s19, ttmp9, 31
	s_lshl_b64 s[0:1], s[24:25], 3
	s_mul_u64 s[22:23], s[26:27], s[18:19]
	v_lshlrev_b32_e32 v3, 3, v4
	s_delay_alu instid0(VALU_DEP_3)
	v_lshlrev_b64_e32 v[1:2], 3, v[1:2]
	s_lshl_b64 s[22:23], s[22:23], 3
	s_lshl_b64 s[4:5], s[4:5], 3
	s_add_nc_u64 s[0:1], s[22:23], s[0:1]
	s_mul_u64 s[18:19], s[30:31], s[18:19]
	v_add_co_u32 v3, s0, s0, v3
	v_add_co_u32 v1, vcc_lo, v1, s4
	s_wait_alu 0xf1ff
	v_add_co_ci_u32_e64 v5, null, s1, 0, s0
	s_delay_alu instid0(VALU_DEP_3)
	v_or_b32_e32 v6, 4, v3
	v_add_co_ci_u32_e64 v7, null, s5, v2, vcc_lo
	v_or_b32_e32 v8, 4, v1
	s_wait_alu 0xfffe
	s_or_b32 s1, s21, s33
	s_lshl_b64 s[4:5], s[6:7], 13
	s_lshl_b64 s[6:7], s[28:29], 3
	;; [unrolled: 1-line block ×3, first 2 shown]
	s_branch .LBB52_4
.LBB52_2:                               ;   in Loop: Header=BB52_4 Depth=1
	s_wait_alu 0xfffe
	s_or_b32 exec_lo, exec_lo, s21
.LBB52_3:                               ;   in Loop: Header=BB52_4 Depth=1
	s_add_co_i32 s8, s8, 0x10000
	s_delay_alu instid0(SALU_CYCLE_1)
	s_cmp_lt_u32 s8, s3
	s_cbranch_scc0 .LBB52_8
.LBB52_4:                               ; =>This Loop Header: Depth=1
                                        ;     Child Loop BB52_7 Depth 2
	s_wait_alu 0xfffe
	s_and_not1_b32 vcc_lo, exec_lo, s1
	s_wait_alu 0xfffe
	s_cbranch_vccnz .LBB52_3
; %bb.5:                                ;   in Loop: Header=BB52_4 Depth=1
	s_and_saveexec_b32 s21, s2
	s_cbranch_execz .LBB52_2
; %bb.6:                                ;   in Loop: Header=BB52_4 Depth=1
	s_lshl_b64 s[22:23], s[8:9], 3
	s_wait_alu 0xfffe
	s_add_nc_u64 s[24:25], s[12:13], s[22:23]
	s_load_b64 s[24:25], s[24:25], 0x0
	s_wait_kmcnt 0x0
	s_add_nc_u64 s[24:25], s[24:25], s[6:7]
	s_wait_alu 0xfffe
	s_add_nc_u64 s[24:25], s[24:25], s[18:19]
	s_wait_alu 0xfffe
	v_dual_mov_b32 v1, s24 :: v_dual_mov_b32 v2, s25
	s_add_nc_u64 s[24:25], s[16:17], s[22:23]
	s_add_nc_u64 s[22:23], s[14:15], s[22:23]
	s_load_b64 s[24:25], s[24:25], 0x0
	s_load_b64 s[22:23], s[22:23], 0x0
	flat_load_b64 v[11:12], v[1:2]
	s_wait_kmcnt 0x0
	v_add_co_u32 v1, vcc_lo, s24, v6
	s_wait_alu 0xfffd
	v_add_co_ci_u32_e64 v2, null, s25, v5, vcc_lo
	v_add_co_u32 v3, vcc_lo, s22, v8
	s_wait_alu 0xfffd
	v_add_co_ci_u32_e64 v4, null, s23, v7, vcc_lo
	s_mov_b32 s22, 0
	s_wait_loadcnt_dscnt 0x0
	v_mul_f32_e32 v9, s10, v12
	s_delay_alu instid0(VALU_DEP_1) | instskip(NEXT) | instid1(VALU_DEP_1)
	v_dual_mul_f32 v10, s11, v12 :: v_dual_fmac_f32 v9, s11, v11
	v_fma_f32 v10, s10, v11, -v10
	v_mov_b32_e32 v11, v0
.LBB52_7:                               ;   Parent Loop BB52_4 Depth=1
                                        ; =>  This Inner Loop Header: Depth=2
	flat_load_b64 v[12:13], v[3:4] offset:-4
	flat_load_b64 v[14:15], v[1:2] offset:-4
	v_add_nc_u32_e32 v11, 0x400, v11
	v_add_co_u32 v3, vcc_lo, v3, s4
	s_wait_alu 0xfffd
	v_add_co_ci_u32_e64 v4, null, s5, v4, vcc_lo
	s_wait_loadcnt_dscnt 0x101
	v_mul_f32_e32 v16, v9, v13
	v_mul_f32_e32 v13, v10, v13
	v_cmp_le_i32_e32 vcc_lo, s20, v11
	s_delay_alu instid0(VALU_DEP_3) | instskip(NEXT) | instid1(VALU_DEP_3)
	v_fma_f32 v16, v10, v12, -v16
	v_fmac_f32_e32 v13, v9, v12
	s_wait_alu 0xfffe
	s_or_b32 s22, vcc_lo, s22
	s_wait_loadcnt_dscnt 0x0
	s_delay_alu instid0(VALU_DEP_1)
	v_dual_add_f32 v12, v14, v16 :: v_dual_add_f32 v13, v13, v15
	flat_store_b64 v[1:2], v[12:13] offset:-4
	v_add_co_u32 v1, s0, 0x2000, v1
	s_wait_alu 0xf1ff
	v_add_co_ci_u32_e64 v2, null, 0, v2, s0
	s_wait_alu 0xfffe
	s_and_not1_b32 exec_lo, exec_lo, s22
	s_cbranch_execnz .LBB52_7
	s_branch .LBB52_2
.LBB52_8:
	s_endpgm
	.section	.rodata,"a",@progbits
	.p2align	6, 0x0
	.amdhsa_kernel _ZL19rocblas_sger_kernelILi1024E19rocblas_complex_numIfES1_PKPKS1_PKPS1_EviiT1_lT2_lllSA_lllT3_lmli
		.amdhsa_group_segment_fixed_size 0
		.amdhsa_private_segment_fixed_size 0
		.amdhsa_kernarg_size 124
		.amdhsa_user_sgpr_count 2
		.amdhsa_user_sgpr_dispatch_ptr 0
		.amdhsa_user_sgpr_queue_ptr 0
		.amdhsa_user_sgpr_kernarg_segment_ptr 1
		.amdhsa_user_sgpr_dispatch_id 0
		.amdhsa_user_sgpr_private_segment_size 0
		.amdhsa_wavefront_size32 1
		.amdhsa_uses_dynamic_stack 0
		.amdhsa_enable_private_segment 0
		.amdhsa_system_sgpr_workgroup_id_x 1
		.amdhsa_system_sgpr_workgroup_id_y 0
		.amdhsa_system_sgpr_workgroup_id_z 1
		.amdhsa_system_sgpr_workgroup_info 0
		.amdhsa_system_vgpr_workitem_id 0
		.amdhsa_next_free_vgpr 17
		.amdhsa_next_free_sgpr 34
		.amdhsa_reserve_vcc 1
		.amdhsa_float_round_mode_32 0
		.amdhsa_float_round_mode_16_64 0
		.amdhsa_float_denorm_mode_32 3
		.amdhsa_float_denorm_mode_16_64 3
		.amdhsa_fp16_overflow 0
		.amdhsa_workgroup_processor_mode 1
		.amdhsa_memory_ordered 1
		.amdhsa_forward_progress 1
		.amdhsa_inst_pref_size 6
		.amdhsa_round_robin_scheduling 0
		.amdhsa_exception_fp_ieee_invalid_op 0
		.amdhsa_exception_fp_denorm_src 0
		.amdhsa_exception_fp_ieee_div_zero 0
		.amdhsa_exception_fp_ieee_overflow 0
		.amdhsa_exception_fp_ieee_underflow 0
		.amdhsa_exception_fp_ieee_inexact 0
		.amdhsa_exception_int_div_zero 0
	.end_amdhsa_kernel
	.section	.text._ZL19rocblas_sger_kernelILi1024E19rocblas_complex_numIfES1_PKPKS1_PKPS1_EviiT1_lT2_lllSA_lllT3_lmli,"axG",@progbits,_ZL19rocblas_sger_kernelILi1024E19rocblas_complex_numIfES1_PKPKS1_PKPS1_EviiT1_lT2_lllSA_lllT3_lmli,comdat
.Lfunc_end52:
	.size	_ZL19rocblas_sger_kernelILi1024E19rocblas_complex_numIfES1_PKPKS1_PKPS1_EviiT1_lT2_lllSA_lllT3_lmli, .Lfunc_end52-_ZL19rocblas_sger_kernelILi1024E19rocblas_complex_numIfES1_PKPKS1_PKPS1_EviiT1_lT2_lllSA_lllT3_lmli
                                        ; -- End function
	.set _ZL19rocblas_sger_kernelILi1024E19rocblas_complex_numIfES1_PKPKS1_PKPS1_EviiT1_lT2_lllSA_lllT3_lmli.num_vgpr, 17
	.set _ZL19rocblas_sger_kernelILi1024E19rocblas_complex_numIfES1_PKPKS1_PKPS1_EviiT1_lT2_lllSA_lllT3_lmli.num_agpr, 0
	.set _ZL19rocblas_sger_kernelILi1024E19rocblas_complex_numIfES1_PKPKS1_PKPS1_EviiT1_lT2_lllSA_lllT3_lmli.numbered_sgpr, 34
	.set _ZL19rocblas_sger_kernelILi1024E19rocblas_complex_numIfES1_PKPKS1_PKPS1_EviiT1_lT2_lllSA_lllT3_lmli.num_named_barrier, 0
	.set _ZL19rocblas_sger_kernelILi1024E19rocblas_complex_numIfES1_PKPKS1_PKPS1_EviiT1_lT2_lllSA_lllT3_lmli.private_seg_size, 0
	.set _ZL19rocblas_sger_kernelILi1024E19rocblas_complex_numIfES1_PKPKS1_PKPS1_EviiT1_lT2_lllSA_lllT3_lmli.uses_vcc, 1
	.set _ZL19rocblas_sger_kernelILi1024E19rocblas_complex_numIfES1_PKPKS1_PKPS1_EviiT1_lT2_lllSA_lllT3_lmli.uses_flat_scratch, 0
	.set _ZL19rocblas_sger_kernelILi1024E19rocblas_complex_numIfES1_PKPKS1_PKPS1_EviiT1_lT2_lllSA_lllT3_lmli.has_dyn_sized_stack, 0
	.set _ZL19rocblas_sger_kernelILi1024E19rocblas_complex_numIfES1_PKPKS1_PKPS1_EviiT1_lT2_lllSA_lllT3_lmli.has_recursion, 0
	.set _ZL19rocblas_sger_kernelILi1024E19rocblas_complex_numIfES1_PKPKS1_PKPS1_EviiT1_lT2_lllSA_lllT3_lmli.has_indirect_call, 0
	.section	.AMDGPU.csdata,"",@progbits
; Kernel info:
; codeLenInByte = 644
; TotalNumSgprs: 36
; NumVgprs: 17
; ScratchSize: 0
; MemoryBound: 0
; FloatMode: 240
; IeeeMode: 1
; LDSByteSize: 0 bytes/workgroup (compile time only)
; SGPRBlocks: 0
; VGPRBlocks: 2
; NumSGPRsForWavesPerEU: 36
; NumVGPRsForWavesPerEU: 17
; Occupancy: 16
; WaveLimiterHint : 1
; COMPUTE_PGM_RSRC2:SCRATCH_EN: 0
; COMPUTE_PGM_RSRC2:USER_SGPR: 2
; COMPUTE_PGM_RSRC2:TRAP_HANDLER: 0
; COMPUTE_PGM_RSRC2:TGID_X_EN: 1
; COMPUTE_PGM_RSRC2:TGID_Y_EN: 0
; COMPUTE_PGM_RSRC2:TGID_Z_EN: 1
; COMPUTE_PGM_RSRC2:TIDIG_COMP_CNT: 0
	.section	.text._ZL18rocblas_ger_kernelILi32ELi32ELi2ELb0E19rocblas_complex_numIfEPKS1_PKS3_PKPS1_EviiT4_lT5_lllSA_lllT6_lmli,"axG",@progbits,_ZL18rocblas_ger_kernelILi32ELi32ELi2ELb0E19rocblas_complex_numIfEPKS1_PKS3_PKPS1_EviiT4_lT5_lllSA_lllT6_lmli,comdat
	.globl	_ZL18rocblas_ger_kernelILi32ELi32ELi2ELb0E19rocblas_complex_numIfEPKS1_PKS3_PKPS1_EviiT4_lT5_lllSA_lllT6_lmli ; -- Begin function _ZL18rocblas_ger_kernelILi32ELi32ELi2ELb0E19rocblas_complex_numIfEPKS1_PKS3_PKPS1_EviiT4_lT5_lllSA_lllT6_lmli
	.p2align	8
	.type	_ZL18rocblas_ger_kernelILi32ELi32ELi2ELb0E19rocblas_complex_numIfEPKS1_PKS3_PKPS1_EviiT4_lT5_lllSA_lllT6_lmli,@function
_ZL18rocblas_ger_kernelILi32ELi32ELi2ELb0E19rocblas_complex_numIfEPKS1_PKS3_PKPS1_EviiT4_lT5_lllSA_lllT6_lmli: ; @_ZL18rocblas_ger_kernelILi32ELi32ELi2ELb0E19rocblas_complex_numIfEPKS1_PKS3_PKPS1_EviiT4_lT5_lllSA_lllT6_lmli
; %bb.0:
	s_load_b32 s30, s[0:1], 0x78
	s_lshr_b32 s6, ttmp7, 16
	s_wait_kmcnt 0x0
	s_cmp_ge_u32 s6, s30
	s_cbranch_scc1 .LBB53_18
; %bb.1:
	s_clause 0x7
	s_load_b64 s[4:5], s[0:1], 0x0
	s_load_b128 s[8:11], s[0:1], 0x8
	s_load_b64 s[24:25], s[0:1], 0x18
	s_load_b128 s[12:15], s[0:1], 0x20
	s_load_b64 s[26:27], s[0:1], 0x38
	s_load_b128 s[16:19], s[0:1], 0x40
	s_load_b64 s[28:29], s[0:1], 0x58
	s_load_b128 s[20:23], s[0:1], 0x60
	s_wait_kmcnt 0x0
	s_add_co_i32 s2, s4, -1
	s_delay_alu instid0(SALU_CYCLE_1) | instskip(NEXT) | instid1(SALU_CYCLE_1)
	s_ashr_i32 s3, s2, 31
	s_lshr_b32 s3, s3, 27
	s_delay_alu instid0(SALU_CYCLE_1) | instskip(NEXT) | instid1(SALU_CYCLE_1)
	s_add_co_i32 s2, s2, s3
	s_ashr_i32 s2, s2, 5
	s_delay_alu instid0(SALU_CYCLE_1) | instskip(SKIP_2) | instid1(SALU_CYCLE_3)
	s_add_co_i32 s3, s2, 1
	s_not_b32 s2, s2
	s_cvt_f32_u32 s7, s3
	v_rcp_iflag_f32_e32 v1, s7
	s_delay_alu instid0(TRANS32_DEP_1) | instskip(SKIP_3) | instid1(VALU_DEP_2)
	v_readfirstlane_b32 s7, v1
	v_bfe_u32 v1, v0, 10, 10
	v_and_b32_e32 v0, 0x3ff, v0
	s_mul_f32 s7, s7, 0x4f7ffffe
	v_lshlrev_b32_e32 v2, 1, v1
	s_delay_alu instid0(VALU_DEP_2) | instskip(SKIP_3) | instid1(VALU_DEP_2)
	v_lshlrev_b32_e32 v3, 3, v0
	v_lshlrev_b32_e32 v14, 4, v1
	s_wait_alu 0xfffe
	s_cvt_u32_f32 s7, s7
	v_add_nc_u32_e32 v15, 0x200, v3
	s_wait_alu 0xfffe
	s_delay_alu instid0(SALU_CYCLE_1) | instskip(SKIP_2) | instid1(SALU_CYCLE_1)
	s_mul_i32 s2, s2, s7
	v_add_nc_u32_e32 v16, v14, v3
	s_mul_hi_u32 s0, s7, s2
	s_add_co_i32 s0, s7, s0
	s_mov_b32 s7, 0
	s_mul_hi_u32 s1, ttmp9, s0
	v_cmp_eq_u32_e64 s0, 0, v1
	s_mul_i32 s2, s1, s3
	s_add_co_i32 s31, s1, 1
	s_sub_co_i32 s2, ttmp9, s2
	s_delay_alu instid0(SALU_CYCLE_1)
	s_sub_co_i32 s33, s2, s3
	s_cmp_ge_u32 s2, s3
	s_cselect_b32 s1, s31, s1
	s_cselect_b32 s2, s33, s2
	s_add_co_i32 s31, s1, 1
	s_cmp_ge_u32 s2, s3
	s_cselect_b32 s2, s31, s1
	v_cmp_gt_u32_e64 s1, 2, v0
	v_lshl_add_u32 v10, s2, 6, v2
	s_mul_i32 s2, s2, s3
	s_lshl_b64 s[12:13], s[12:13], 3
	s_wait_alu 0xfffe
	s_sub_co_i32 s2, ttmp9, s2
	v_or_b32_e32 v11, v10, v0
	s_wait_alu 0xfffe
	v_lshl_add_u32 v0, s2, 5, v0
	v_ashrrev_i32_e32 v8, 31, v10
	v_or_b32_e32 v13, 1, v10
	v_mul_lo_u32 v12, s23, v10
	v_mad_co_u64_u32 v[6:7], null, s18, v11, 0
	v_ashrrev_i32_e32 v1, 31, v0
	v_mul_lo_u32 v18, s22, v8
	v_mad_co_u64_u32 v[2:3], null, s22, v10, 0
	v_mul_lo_u32 v17, s15, v0
	v_mad_co_u64_u32 v[4:5], null, s14, v0, 0
	v_mad_co_u64_u32 v[7:8], null, s19, v11, v[7:8]
	v_mul_lo_u32 v19, s23, v13
	v_mul_lo_u32 v20, s14, v1
	v_mad_co_u64_u32 v[8:9], null, s22, v13, 0
	v_add3_u32 v3, v3, v18, v12
	v_cmp_gt_i32_e64 s3, s4, v0
	v_lshlrev_b64_e32 v[0:1], 3, v[0:1]
	v_lshlrev_b64_e32 v[6:7], 3, v[6:7]
	v_cmp_gt_i32_e64 s2, s5, v10
	v_add3_u32 v5, v5, v20, v17
	v_add3_u32 v9, v9, v18, v19
	v_lshlrev_b64_e32 v[2:3], 3, v[2:3]
	v_cmp_gt_u32_e64 s4, s5, v11
	v_cmp_gt_i32_e64 s5, s5, v13
	v_lshlrev_b64_e32 v[4:5], 3, v[4:5]
	v_lshlrev_b64_e32 v[8:9], 3, v[8:9]
	v_mov_b32_e32 v17, 0
	s_lshl_b64 s[14:15], s[16:17], 3
	s_lshl_b64 s[16:17], s[20:21], 3
	s_branch .LBB53_4
.LBB53_2:                               ;   in Loop: Header=BB53_4 Depth=1
	s_wait_alu 0xfffe
	s_or_b32 exec_lo, exec_lo, s20
.LBB53_3:                               ;   in Loop: Header=BB53_4 Depth=1
	s_add_co_i32 s6, s6, 0x10000
	s_wait_alu 0xfffe
	s_cmp_lt_u32 s6, s30
	s_cbranch_scc0 .LBB53_18
.LBB53_4:                               ; =>This Inner Loop Header: Depth=1
	s_mul_u64 s[18:19], s[10:11], s[6:7]
	s_wait_alu 0xfffe
	s_lshl_b64 s[18:19], s[18:19], 3
	s_wait_alu 0xfffe
	s_add_nc_u64 s[18:19], s[8:9], s[18:19]
	global_load_b64 v[10:11], v17, s[18:19]
	s_wait_loadcnt 0x0
	v_or_b32_e32 v12, v10, v11
	s_delay_alu instid0(VALU_DEP_1) | instskip(NEXT) | instid1(VALU_DEP_1)
	v_and_b32_e32 v12, 0x7fffffff, v12
	v_cmp_eq_u32_e32 vcc_lo, 0, v12
	s_cbranch_vccnz .LBB53_3
; %bb.5:                                ;   in Loop: Header=BB53_4 Depth=1
	s_lshl_b64 s[22:23], s[6:7], 3
	s_wait_alu 0xfffe
	s_add_nc_u64 s[18:19], s[26:27], s[22:23]
	s_add_nc_u64 s[34:35], s[28:29], s[22:23]
	s_load_b64 s[20:21], s[18:19], 0x0
	s_load_b64 s[18:19], s[34:35], 0x0
	s_and_saveexec_b32 s31, s0
	s_cbranch_execz .LBB53_9
; %bb.6:                                ;   in Loop: Header=BB53_4 Depth=1
	v_dual_mov_b32 v12, 0 :: v_dual_mov_b32 v13, 0
	s_and_saveexec_b32 s33, s3
	s_cbranch_execz .LBB53_8
; %bb.7:                                ;   in Loop: Header=BB53_4 Depth=1
	s_add_nc_u64 s[22:23], s[24:25], s[22:23]
	s_load_b64 s[22:23], s[22:23], 0x0
	s_wait_kmcnt 0x0
	s_add_nc_u64 s[22:23], s[22:23], s[12:13]
	s_wait_alu 0xfffe
	v_add_co_u32 v12, vcc_lo, s22, v4
	s_wait_alu 0xfffd
	v_add_co_ci_u32_e64 v13, null, s23, v5, vcc_lo
	flat_load_b64 v[12:13], v[12:13]
.LBB53_8:                               ;   in Loop: Header=BB53_4 Depth=1
	s_or_b32 exec_lo, exec_lo, s33
	s_wait_loadcnt_dscnt 0x0
	ds_store_b64 v15, v[12:13]
.LBB53_9:                               ;   in Loop: Header=BB53_4 Depth=1
	s_or_b32 exec_lo, exec_lo, s31
	s_and_saveexec_b32 s22, s1
	s_cbranch_execz .LBB53_13
; %bb.10:                               ;   in Loop: Header=BB53_4 Depth=1
	v_dual_mov_b32 v12, 0 :: v_dual_mov_b32 v13, 0
	s_and_saveexec_b32 s23, s4
	s_cbranch_execz .LBB53_12
; %bb.11:                               ;   in Loop: Header=BB53_4 Depth=1
	s_wait_kmcnt 0x0
	s_add_nc_u64 s[20:21], s[20:21], s[14:15]
	s_wait_alu 0xfffe
	v_add_co_u32 v12, vcc_lo, s20, v6
	s_wait_alu 0xfffd
	v_add_co_ci_u32_e64 v13, null, s21, v7, vcc_lo
	flat_load_b64 v[12:13], v[12:13]
.LBB53_12:                              ;   in Loop: Header=BB53_4 Depth=1
	s_wait_alu 0xfffe
	s_or_b32 exec_lo, exec_lo, s23
	s_wait_loadcnt_dscnt 0x0
	ds_store_b64 v16, v[12:13]
.LBB53_13:                              ;   in Loop: Header=BB53_4 Depth=1
	s_wait_alu 0xfffe
	s_or_b32 exec_lo, exec_lo, s22
	s_wait_dscnt 0x0
	s_barrier_signal -1
	s_barrier_wait -1
	global_inv scope:SCOPE_SE
	s_wait_kmcnt 0x0
	s_and_saveexec_b32 s20, s3
	s_cbranch_execz .LBB53_2
; %bb.14:                               ;   in Loop: Header=BB53_4 Depth=1
	ds_load_b64 v[18:19], v15
	s_add_nc_u64 s[18:19], s[18:19], s[16:17]
	s_wait_dscnt 0x0
	v_mul_f32_e32 v12, v19, v10
	v_mul_f32_e32 v13, v19, v11
	s_delay_alu instid0(VALU_DEP_2) | instskip(SKIP_2) | instid1(VALU_DEP_3)
	v_fmac_f32_e32 v12, v18, v11
	s_wait_alu 0xfffe
	v_add_co_u32 v11, vcc_lo, s18, v0
	v_fma_f32 v10, v18, v10, -v13
	s_wait_alu 0xfffd
	v_add_co_ci_u32_e64 v13, null, s19, v1, vcc_lo
	s_and_saveexec_b32 s18, s2
	s_cbranch_execz .LBB53_16
; %bb.15:                               ;   in Loop: Header=BB53_4 Depth=1
	v_add_co_u32 v18, vcc_lo, v11, v2
	s_wait_alu 0xfffd
	v_add_co_ci_u32_e64 v19, null, v13, v3, vcc_lo
	ds_load_b64 v[22:23], v14
	flat_load_b64 v[20:21], v[18:19]
	s_wait_dscnt 0x1
	v_mul_f32_e32 v24, v12, v23
	v_mul_f32_e32 v23, v10, v23
	s_delay_alu instid0(VALU_DEP_1) | instskip(SKIP_1) | instid1(VALU_DEP_1)
	v_fmac_f32_e32 v23, v12, v22
	s_wait_loadcnt_dscnt 0x0
	v_add_f32_e32 v21, v23, v21
	v_fma_f32 v24, v10, v22, -v24
	s_delay_alu instid0(VALU_DEP_1)
	v_add_f32_e32 v20, v20, v24
	flat_store_b64 v[18:19], v[20:21]
.LBB53_16:                              ;   in Loop: Header=BB53_4 Depth=1
	s_wait_alu 0xfffe
	s_or_b32 exec_lo, exec_lo, s18
	s_delay_alu instid0(SALU_CYCLE_1)
	s_and_b32 exec_lo, exec_lo, s5
	s_cbranch_execz .LBB53_2
; %bb.17:                               ;   in Loop: Header=BB53_4 Depth=1
	v_add_co_u32 v18, vcc_lo, v11, v8
	s_wait_alu 0xfffd
	v_add_co_ci_u32_e64 v19, null, v13, v9, vcc_lo
	ds_load_b64 v[22:23], v14 offset:8
	flat_load_b64 v[20:21], v[18:19]
	s_wait_dscnt 0x1
	v_mul_f32_e32 v11, v12, v23
	v_mul_f32_e32 v13, v10, v23
	s_delay_alu instid0(VALU_DEP_2) | instskip(SKIP_1) | instid1(VALU_DEP_1)
	v_fma_f32 v10, v10, v22, -v11
	s_wait_loadcnt_dscnt 0x0
	v_add_f32_e32 v10, v20, v10
	s_delay_alu instid0(VALU_DEP_3) | instskip(NEXT) | instid1(VALU_DEP_1)
	v_fmac_f32_e32 v13, v12, v22
	v_add_f32_e32 v11, v13, v21
	flat_store_b64 v[18:19], v[10:11]
	s_branch .LBB53_2
.LBB53_18:
	s_endpgm
	.section	.rodata,"a",@progbits
	.p2align	6, 0x0
	.amdhsa_kernel _ZL18rocblas_ger_kernelILi32ELi32ELi2ELb0E19rocblas_complex_numIfEPKS1_PKS3_PKPS1_EviiT4_lT5_lllSA_lllT6_lmli
		.amdhsa_group_segment_fixed_size 768
		.amdhsa_private_segment_fixed_size 0
		.amdhsa_kernarg_size 124
		.amdhsa_user_sgpr_count 2
		.amdhsa_user_sgpr_dispatch_ptr 0
		.amdhsa_user_sgpr_queue_ptr 0
		.amdhsa_user_sgpr_kernarg_segment_ptr 1
		.amdhsa_user_sgpr_dispatch_id 0
		.amdhsa_user_sgpr_private_segment_size 0
		.amdhsa_wavefront_size32 1
		.amdhsa_uses_dynamic_stack 0
		.amdhsa_enable_private_segment 0
		.amdhsa_system_sgpr_workgroup_id_x 1
		.amdhsa_system_sgpr_workgroup_id_y 0
		.amdhsa_system_sgpr_workgroup_id_z 1
		.amdhsa_system_sgpr_workgroup_info 0
		.amdhsa_system_vgpr_workitem_id 1
		.amdhsa_next_free_vgpr 25
		.amdhsa_next_free_sgpr 36
		.amdhsa_reserve_vcc 1
		.amdhsa_float_round_mode_32 0
		.amdhsa_float_round_mode_16_64 0
		.amdhsa_float_denorm_mode_32 3
		.amdhsa_float_denorm_mode_16_64 3
		.amdhsa_fp16_overflow 0
		.amdhsa_workgroup_processor_mode 1
		.amdhsa_memory_ordered 1
		.amdhsa_forward_progress 1
		.amdhsa_inst_pref_size 10
		.amdhsa_round_robin_scheduling 0
		.amdhsa_exception_fp_ieee_invalid_op 0
		.amdhsa_exception_fp_denorm_src 0
		.amdhsa_exception_fp_ieee_div_zero 0
		.amdhsa_exception_fp_ieee_overflow 0
		.amdhsa_exception_fp_ieee_underflow 0
		.amdhsa_exception_fp_ieee_inexact 0
		.amdhsa_exception_int_div_zero 0
	.end_amdhsa_kernel
	.section	.text._ZL18rocblas_ger_kernelILi32ELi32ELi2ELb0E19rocblas_complex_numIfEPKS1_PKS3_PKPS1_EviiT4_lT5_lllSA_lllT6_lmli,"axG",@progbits,_ZL18rocblas_ger_kernelILi32ELi32ELi2ELb0E19rocblas_complex_numIfEPKS1_PKS3_PKPS1_EviiT4_lT5_lllSA_lllT6_lmli,comdat
.Lfunc_end53:
	.size	_ZL18rocblas_ger_kernelILi32ELi32ELi2ELb0E19rocblas_complex_numIfEPKS1_PKS3_PKPS1_EviiT4_lT5_lllSA_lllT6_lmli, .Lfunc_end53-_ZL18rocblas_ger_kernelILi32ELi32ELi2ELb0E19rocblas_complex_numIfEPKS1_PKS3_PKPS1_EviiT4_lT5_lllSA_lllT6_lmli
                                        ; -- End function
	.set _ZL18rocblas_ger_kernelILi32ELi32ELi2ELb0E19rocblas_complex_numIfEPKS1_PKS3_PKPS1_EviiT4_lT5_lllSA_lllT6_lmli.num_vgpr, 25
	.set _ZL18rocblas_ger_kernelILi32ELi32ELi2ELb0E19rocblas_complex_numIfEPKS1_PKS3_PKPS1_EviiT4_lT5_lllSA_lllT6_lmli.num_agpr, 0
	.set _ZL18rocblas_ger_kernelILi32ELi32ELi2ELb0E19rocblas_complex_numIfEPKS1_PKS3_PKPS1_EviiT4_lT5_lllSA_lllT6_lmli.numbered_sgpr, 36
	.set _ZL18rocblas_ger_kernelILi32ELi32ELi2ELb0E19rocblas_complex_numIfEPKS1_PKS3_PKPS1_EviiT4_lT5_lllSA_lllT6_lmli.num_named_barrier, 0
	.set _ZL18rocblas_ger_kernelILi32ELi32ELi2ELb0E19rocblas_complex_numIfEPKS1_PKS3_PKPS1_EviiT4_lT5_lllSA_lllT6_lmli.private_seg_size, 0
	.set _ZL18rocblas_ger_kernelILi32ELi32ELi2ELb0E19rocblas_complex_numIfEPKS1_PKS3_PKPS1_EviiT4_lT5_lllSA_lllT6_lmli.uses_vcc, 1
	.set _ZL18rocblas_ger_kernelILi32ELi32ELi2ELb0E19rocblas_complex_numIfEPKS1_PKS3_PKPS1_EviiT4_lT5_lllSA_lllT6_lmli.uses_flat_scratch, 0
	.set _ZL18rocblas_ger_kernelILi32ELi32ELi2ELb0E19rocblas_complex_numIfEPKS1_PKS3_PKPS1_EviiT4_lT5_lllSA_lllT6_lmli.has_dyn_sized_stack, 0
	.set _ZL18rocblas_ger_kernelILi32ELi32ELi2ELb0E19rocblas_complex_numIfEPKS1_PKS3_PKPS1_EviiT4_lT5_lllSA_lllT6_lmli.has_recursion, 0
	.set _ZL18rocblas_ger_kernelILi32ELi32ELi2ELb0E19rocblas_complex_numIfEPKS1_PKS3_PKPS1_EviiT4_lT5_lllSA_lllT6_lmli.has_indirect_call, 0
	.section	.AMDGPU.csdata,"",@progbits
; Kernel info:
; codeLenInByte = 1168
; TotalNumSgprs: 38
; NumVgprs: 25
; ScratchSize: 0
; MemoryBound: 0
; FloatMode: 240
; IeeeMode: 1
; LDSByteSize: 768 bytes/workgroup (compile time only)
; SGPRBlocks: 0
; VGPRBlocks: 3
; NumSGPRsForWavesPerEU: 38
; NumVGPRsForWavesPerEU: 25
; Occupancy: 16
; WaveLimiterHint : 1
; COMPUTE_PGM_RSRC2:SCRATCH_EN: 0
; COMPUTE_PGM_RSRC2:USER_SGPR: 2
; COMPUTE_PGM_RSRC2:TRAP_HANDLER: 0
; COMPUTE_PGM_RSRC2:TGID_X_EN: 1
; COMPUTE_PGM_RSRC2:TGID_Y_EN: 0
; COMPUTE_PGM_RSRC2:TGID_Z_EN: 1
; COMPUTE_PGM_RSRC2:TIDIG_COMP_CNT: 1
	.section	.text._ZL18rocblas_ger_kernelILi32ELi32ELi2ELb0E19rocblas_complex_numIfES1_PKPKS1_PKPS1_EviiT4_lT5_lllSA_lllT6_lmli,"axG",@progbits,_ZL18rocblas_ger_kernelILi32ELi32ELi2ELb0E19rocblas_complex_numIfES1_PKPKS1_PKPS1_EviiT4_lT5_lllSA_lllT6_lmli,comdat
	.globl	_ZL18rocblas_ger_kernelILi32ELi32ELi2ELb0E19rocblas_complex_numIfES1_PKPKS1_PKPS1_EviiT4_lT5_lllSA_lllT6_lmli ; -- Begin function _ZL18rocblas_ger_kernelILi32ELi32ELi2ELb0E19rocblas_complex_numIfES1_PKPKS1_PKPS1_EviiT4_lT5_lllSA_lllT6_lmli
	.p2align	8
	.type	_ZL18rocblas_ger_kernelILi32ELi32ELi2ELb0E19rocblas_complex_numIfES1_PKPKS1_PKPS1_EviiT4_lT5_lllSA_lllT6_lmli,@function
_ZL18rocblas_ger_kernelILi32ELi32ELi2ELb0E19rocblas_complex_numIfES1_PKPKS1_PKPS1_EviiT4_lT5_lllSA_lllT6_lmli: ; @_ZL18rocblas_ger_kernelILi32ELi32ELi2ELb0E19rocblas_complex_numIfES1_PKPKS1_PKPS1_EviiT4_lT5_lllSA_lllT6_lmli
; %bb.0:
	s_load_b32 s28, s[0:1], 0x78
	s_lshr_b32 s20, ttmp7, 16
	s_wait_kmcnt 0x0
	s_cmp_ge_u32 s20, s28
	s_cbranch_scc1 .LBB54_18
; %bb.1:
	s_load_b128 s[4:7], s[0:1], 0x0
	v_and_b32_e32 v2, 0x3ff, v0
	s_wait_kmcnt 0x0
	s_add_co_i32 s2, s4, -1
	s_delay_alu instid0(SALU_CYCLE_1) | instskip(NEXT) | instid1(SALU_CYCLE_1)
	s_ashr_i32 s3, s2, 31
	s_lshr_b32 s3, s3, 27
	s_delay_alu instid0(SALU_CYCLE_1) | instskip(NEXT) | instid1(SALU_CYCLE_1)
	s_add_co_i32 s2, s2, s3
	s_ashr_i32 s2, s2, 5
	s_delay_alu instid0(SALU_CYCLE_1) | instskip(NEXT) | instid1(SALU_CYCLE_1)
	s_add_co_i32 s3, s2, 1
	s_cvt_f32_u32 s8, s3
	s_delay_alu instid0(SALU_CYCLE_3) | instskip(SKIP_4) | instid1(TRANS32_DEP_1)
	v_rcp_iflag_f32_e32 v1, s8
	s_clause 0x2
	s_load_b64 s[22:23], s[0:1], 0x18
	s_load_b64 s[24:25], s[0:1], 0x38
	s_load_b128 s[8:11], s[0:1], 0x20
	v_readfirstlane_b32 s12, v1
	v_bfe_u32 v1, v0, 10, 10
	s_mul_f32 s21, s12, 0x4f7ffffe
	s_clause 0x2
	s_load_b64 s[26:27], s[0:1], 0x58
	s_load_b128 s[12:15], s[0:1], 0x40
	s_load_b128 s[16:19], s[0:1], 0x60
	s_not_b32 s0, s2
	v_lshlrev_b32_e32 v0, 1, v1
	s_cvt_u32_f32 s1, s21
	v_lshlrev_b32_e32 v12, 4, v1
	s_mov_b32 s21, 0
	s_delay_alu instid0(SALU_CYCLE_1) | instskip(NEXT) | instid1(SALU_CYCLE_1)
	s_mul_i32 s0, s0, s1
	s_mul_hi_u32 s2, s1, s0
	v_cmp_eq_u32_e64 s0, 0, v1
	s_add_co_i32 s1, s1, s2
	s_delay_alu instid0(SALU_CYCLE_1) | instskip(NEXT) | instid1(SALU_CYCLE_1)
	s_mul_hi_u32 s2, ttmp9, s1
	s_mul_i32 s29, s2, s3
	s_add_co_i32 s30, s2, 1
	s_sub_co_i32 s29, ttmp9, s29
	s_delay_alu instid0(SALU_CYCLE_1)
	s_sub_co_i32 s31, s29, s3
	s_cmp_ge_u32 s29, s3
	s_cselect_b32 s2, s30, s2
	s_cselect_b32 s29, s31, s29
	s_add_co_i32 s30, s2, 1
	s_cmp_ge_u32 s29, s3
	s_cselect_b32 s2, s30, s2
	s_or_b32 s29, s6, s7
	v_lshl_add_u32 v15, s2, 6, v0
	s_mul_i32 s2, s2, s3
	s_bitset0_b32 s29, 31
	s_wait_alu 0xfffe
	s_sub_co_i32 s2, ttmp9, s2
	s_cmp_lg_u32 s29, 0
	v_or_b32_e32 v16, v15, v2
	s_wait_alu 0xfffe
	v_lshl_add_u32 v0, s2, 5, v2
	v_ashrrev_i32_e32 v4, 31, v15
	v_or_b32_e32 v18, 1, v15
	s_wait_kmcnt 0x0
	v_mul_lo_u32 v17, s19, v15
	v_mad_co_u64_u32 v[8:9], null, s14, v16, 0
	v_ashrrev_i32_e32 v1, 31, v0
	v_mul_lo_u32 v20, s18, v4
	v_mul_lo_u32 v19, s11, v0
	v_mad_co_u64_u32 v[6:7], null, s10, v0, 0
	v_mul_lo_u32 v21, s19, v18
	v_mov_b32_e32 v4, v9
	v_mul_lo_u32 v9, s10, v1
	v_mad_co_u64_u32 v[10:11], null, s18, v18, 0
	v_cmp_gt_i32_e64 s3, s4, v0
	s_delay_alu instid0(VALU_DEP_4)
	v_mad_co_u64_u32 v[4:5], null, s15, v16, v[4:5]
	v_lshlrev_b64_e32 v[0:1], 3, v[0:1]
	v_cmp_gt_i32_e64 s2, s5, v15
	v_add3_u32 v7, v7, v9, v19
	v_add3_u32 v11, v11, v20, v21
	v_cmp_gt_u32_e64 s4, s5, v16
	v_cmp_gt_i32_e64 s5, s5, v18
	v_mov_b32_e32 v9, v4
	v_lshlrev_b32_e32 v3, 3, v2
	v_cmp_gt_u32_e64 s1, 2, v2
	v_lshlrev_b64_e32 v[4:5], 3, v[10:11]
	v_lshlrev_b64_e32 v[6:7], 3, v[6:7]
	;; [unrolled: 1-line block ×3, first 2 shown]
	v_add_nc_u32_e32 v13, 0x200, v3
	v_add_nc_u32_e32 v14, v12, v3
	v_mad_co_u64_u32 v[2:3], null, s18, v15, 0
	s_cselect_b32 s29, -1, 0
	s_lshl_b64 s[8:9], s[8:9], 3
	s_lshl_b64 s[10:11], s[12:13], 3
	;; [unrolled: 1-line block ×3, first 2 shown]
	v_add3_u32 v3, v3, v20, v17
	s_delay_alu instid0(VALU_DEP_1)
	v_lshlrev_b64_e32 v[2:3], 3, v[2:3]
	s_branch .LBB54_4
.LBB54_2:                               ;   in Loop: Header=BB54_4 Depth=1
	s_wait_alu 0xfffe
	s_or_b32 exec_lo, exec_lo, s16
.LBB54_3:                               ;   in Loop: Header=BB54_4 Depth=1
	s_add_co_i32 s20, s20, 0x10000
	s_delay_alu instid0(SALU_CYCLE_1)
	s_cmp_lt_u32 s20, s28
	s_cbranch_scc0 .LBB54_18
.LBB54_4:                               ; =>This Inner Loop Header: Depth=1
	s_and_not1_b32 vcc_lo, exec_lo, s29
	s_wait_alu 0xfffe
	s_cbranch_vccnz .LBB54_3
; %bb.5:                                ;   in Loop: Header=BB54_4 Depth=1
	s_lshl_b64 s[18:19], s[20:21], 3
	s_wait_alu 0xfffe
	s_add_nc_u64 s[14:15], s[24:25], s[18:19]
	s_add_nc_u64 s[30:31], s[26:27], s[18:19]
	s_load_b64 s[16:17], s[14:15], 0x0
	s_load_b64 s[14:15], s[30:31], 0x0
	s_and_saveexec_b32 s30, s0
	s_cbranch_execz .LBB54_9
; %bb.6:                                ;   in Loop: Header=BB54_4 Depth=1
	v_dual_mov_b32 v10, 0 :: v_dual_mov_b32 v11, 0
	s_and_saveexec_b32 s31, s3
	s_cbranch_execz .LBB54_8
; %bb.7:                                ;   in Loop: Header=BB54_4 Depth=1
	s_add_nc_u64 s[18:19], s[22:23], s[18:19]
	s_load_b64 s[18:19], s[18:19], 0x0
	s_wait_kmcnt 0x0
	s_add_nc_u64 s[18:19], s[18:19], s[8:9]
	s_wait_alu 0xfffe
	v_add_co_u32 v10, vcc_lo, s18, v6
	s_wait_alu 0xfffd
	v_add_co_ci_u32_e64 v11, null, s19, v7, vcc_lo
	flat_load_b64 v[10:11], v[10:11]
.LBB54_8:                               ;   in Loop: Header=BB54_4 Depth=1
	s_or_b32 exec_lo, exec_lo, s31
	s_wait_loadcnt_dscnt 0x0
	ds_store_b64 v13, v[10:11]
.LBB54_9:                               ;   in Loop: Header=BB54_4 Depth=1
	s_or_b32 exec_lo, exec_lo, s30
	s_and_saveexec_b32 s18, s1
	s_cbranch_execz .LBB54_13
; %bb.10:                               ;   in Loop: Header=BB54_4 Depth=1
	v_dual_mov_b32 v10, 0 :: v_dual_mov_b32 v11, 0
	s_and_saveexec_b32 s19, s4
	s_cbranch_execz .LBB54_12
; %bb.11:                               ;   in Loop: Header=BB54_4 Depth=1
	s_wait_kmcnt 0x0
	s_add_nc_u64 s[16:17], s[16:17], s[10:11]
	s_wait_alu 0xfffe
	v_add_co_u32 v10, vcc_lo, s16, v8
	s_wait_alu 0xfffd
	v_add_co_ci_u32_e64 v11, null, s17, v9, vcc_lo
	flat_load_b64 v[10:11], v[10:11]
.LBB54_12:                              ;   in Loop: Header=BB54_4 Depth=1
	s_wait_alu 0xfffe
	s_or_b32 exec_lo, exec_lo, s19
	s_wait_loadcnt_dscnt 0x0
	ds_store_b64 v14, v[10:11]
.LBB54_13:                              ;   in Loop: Header=BB54_4 Depth=1
	s_wait_alu 0xfffe
	s_or_b32 exec_lo, exec_lo, s18
	s_wait_dscnt 0x0
	s_barrier_signal -1
	s_barrier_wait -1
	global_inv scope:SCOPE_SE
	s_wait_kmcnt 0x0
	s_and_saveexec_b32 s16, s3
	s_cbranch_execz .LBB54_2
; %bb.14:                               ;   in Loop: Header=BB54_4 Depth=1
	ds_load_b64 v[15:16], v13
	s_add_nc_u64 s[14:15], s[14:15], s[12:13]
	s_wait_dscnt 0x0
	v_mul_f32_e32 v10, s6, v16
	s_delay_alu instid0(VALU_DEP_1) | instskip(NEXT) | instid1(VALU_DEP_1)
	v_dual_mul_f32 v11, s7, v16 :: v_dual_fmac_f32 v10, s7, v15
	v_fma_f32 v11, v15, s6, -v11
	s_wait_alu 0xfffe
	v_add_co_u32 v15, vcc_lo, s14, v0
	s_wait_alu 0xfffd
	v_add_co_ci_u32_e64 v16, null, s15, v1, vcc_lo
	s_and_saveexec_b32 s14, s2
	s_cbranch_execz .LBB54_16
; %bb.15:                               ;   in Loop: Header=BB54_4 Depth=1
	v_add_co_u32 v17, vcc_lo, v15, v2
	s_wait_alu 0xfffd
	v_add_co_ci_u32_e64 v18, null, v16, v3, vcc_lo
	ds_load_b64 v[21:22], v12
	flat_load_b64 v[19:20], v[17:18]
	s_wait_dscnt 0x1
	v_mul_f32_e32 v23, v10, v22
	v_mul_f32_e32 v22, v11, v22
	s_delay_alu instid0(VALU_DEP_2) | instskip(SKIP_1) | instid1(VALU_DEP_1)
	v_fma_f32 v23, v11, v21, -v23
	s_wait_loadcnt_dscnt 0x0
	v_dual_fmac_f32 v22, v10, v21 :: v_dual_add_f32 v19, v19, v23
	s_delay_alu instid0(VALU_DEP_1)
	v_add_f32_e32 v20, v22, v20
	flat_store_b64 v[17:18], v[19:20]
.LBB54_16:                              ;   in Loop: Header=BB54_4 Depth=1
	s_wait_alu 0xfffe
	s_or_b32 exec_lo, exec_lo, s14
	s_delay_alu instid0(SALU_CYCLE_1)
	s_and_b32 exec_lo, exec_lo, s5
	s_cbranch_execz .LBB54_2
; %bb.17:                               ;   in Loop: Header=BB54_4 Depth=1
	v_add_co_u32 v15, vcc_lo, v15, v4
	s_wait_alu 0xfffd
	v_add_co_ci_u32_e64 v16, null, v16, v5, vcc_lo
	ds_load_b64 v[19:20], v12 offset:8
	flat_load_b64 v[17:18], v[15:16]
	s_wait_dscnt 0x1
	v_mul_f32_e32 v21, v10, v20
	v_mul_f32_e32 v20, v11, v20
	s_delay_alu instid0(VALU_DEP_2) | instskip(NEXT) | instid1(VALU_DEP_2)
	v_fma_f32 v11, v11, v19, -v21
	v_fmac_f32_e32 v20, v10, v19
	s_wait_loadcnt_dscnt 0x0
	s_delay_alu instid0(VALU_DEP_1)
	v_dual_add_f32 v10, v17, v11 :: v_dual_add_f32 v11, v20, v18
	flat_store_b64 v[15:16], v[10:11]
	s_branch .LBB54_2
.LBB54_18:
	s_endpgm
	.section	.rodata,"a",@progbits
	.p2align	6, 0x0
	.amdhsa_kernel _ZL18rocblas_ger_kernelILi32ELi32ELi2ELb0E19rocblas_complex_numIfES1_PKPKS1_PKPS1_EviiT4_lT5_lllSA_lllT6_lmli
		.amdhsa_group_segment_fixed_size 768
		.amdhsa_private_segment_fixed_size 0
		.amdhsa_kernarg_size 124
		.amdhsa_user_sgpr_count 2
		.amdhsa_user_sgpr_dispatch_ptr 0
		.amdhsa_user_sgpr_queue_ptr 0
		.amdhsa_user_sgpr_kernarg_segment_ptr 1
		.amdhsa_user_sgpr_dispatch_id 0
		.amdhsa_user_sgpr_private_segment_size 0
		.amdhsa_wavefront_size32 1
		.amdhsa_uses_dynamic_stack 0
		.amdhsa_enable_private_segment 0
		.amdhsa_system_sgpr_workgroup_id_x 1
		.amdhsa_system_sgpr_workgroup_id_y 0
		.amdhsa_system_sgpr_workgroup_id_z 1
		.amdhsa_system_sgpr_workgroup_info 0
		.amdhsa_system_vgpr_workitem_id 1
		.amdhsa_next_free_vgpr 24
		.amdhsa_next_free_sgpr 32
		.amdhsa_reserve_vcc 1
		.amdhsa_float_round_mode_32 0
		.amdhsa_float_round_mode_16_64 0
		.amdhsa_float_denorm_mode_32 3
		.amdhsa_float_denorm_mode_16_64 3
		.amdhsa_fp16_overflow 0
		.amdhsa_workgroup_processor_mode 1
		.amdhsa_memory_ordered 1
		.amdhsa_forward_progress 1
		.amdhsa_inst_pref_size 9
		.amdhsa_round_robin_scheduling 0
		.amdhsa_exception_fp_ieee_invalid_op 0
		.amdhsa_exception_fp_denorm_src 0
		.amdhsa_exception_fp_ieee_div_zero 0
		.amdhsa_exception_fp_ieee_overflow 0
		.amdhsa_exception_fp_ieee_underflow 0
		.amdhsa_exception_fp_ieee_inexact 0
		.amdhsa_exception_int_div_zero 0
	.end_amdhsa_kernel
	.section	.text._ZL18rocblas_ger_kernelILi32ELi32ELi2ELb0E19rocblas_complex_numIfES1_PKPKS1_PKPS1_EviiT4_lT5_lllSA_lllT6_lmli,"axG",@progbits,_ZL18rocblas_ger_kernelILi32ELi32ELi2ELb0E19rocblas_complex_numIfES1_PKPKS1_PKPS1_EviiT4_lT5_lllSA_lllT6_lmli,comdat
.Lfunc_end54:
	.size	_ZL18rocblas_ger_kernelILi32ELi32ELi2ELb0E19rocblas_complex_numIfES1_PKPKS1_PKPS1_EviiT4_lT5_lllSA_lllT6_lmli, .Lfunc_end54-_ZL18rocblas_ger_kernelILi32ELi32ELi2ELb0E19rocblas_complex_numIfES1_PKPKS1_PKPS1_EviiT4_lT5_lllSA_lllT6_lmli
                                        ; -- End function
	.set _ZL18rocblas_ger_kernelILi32ELi32ELi2ELb0E19rocblas_complex_numIfES1_PKPKS1_PKPS1_EviiT4_lT5_lllSA_lllT6_lmli.num_vgpr, 24
	.set _ZL18rocblas_ger_kernelILi32ELi32ELi2ELb0E19rocblas_complex_numIfES1_PKPKS1_PKPS1_EviiT4_lT5_lllSA_lllT6_lmli.num_agpr, 0
	.set _ZL18rocblas_ger_kernelILi32ELi32ELi2ELb0E19rocblas_complex_numIfES1_PKPKS1_PKPS1_EviiT4_lT5_lllSA_lllT6_lmli.numbered_sgpr, 32
	.set _ZL18rocblas_ger_kernelILi32ELi32ELi2ELb0E19rocblas_complex_numIfES1_PKPKS1_PKPS1_EviiT4_lT5_lllSA_lllT6_lmli.num_named_barrier, 0
	.set _ZL18rocblas_ger_kernelILi32ELi32ELi2ELb0E19rocblas_complex_numIfES1_PKPKS1_PKPS1_EviiT4_lT5_lllSA_lllT6_lmli.private_seg_size, 0
	.set _ZL18rocblas_ger_kernelILi32ELi32ELi2ELb0E19rocblas_complex_numIfES1_PKPKS1_PKPS1_EviiT4_lT5_lllSA_lllT6_lmli.uses_vcc, 1
	.set _ZL18rocblas_ger_kernelILi32ELi32ELi2ELb0E19rocblas_complex_numIfES1_PKPKS1_PKPS1_EviiT4_lT5_lllSA_lllT6_lmli.uses_flat_scratch, 0
	.set _ZL18rocblas_ger_kernelILi32ELi32ELi2ELb0E19rocblas_complex_numIfES1_PKPKS1_PKPS1_EviiT4_lT5_lllSA_lllT6_lmli.has_dyn_sized_stack, 0
	.set _ZL18rocblas_ger_kernelILi32ELi32ELi2ELb0E19rocblas_complex_numIfES1_PKPKS1_PKPS1_EviiT4_lT5_lllSA_lllT6_lmli.has_recursion, 0
	.set _ZL18rocblas_ger_kernelILi32ELi32ELi2ELb0E19rocblas_complex_numIfES1_PKPKS1_PKPS1_EviiT4_lT5_lllSA_lllT6_lmli.has_indirect_call, 0
	.section	.AMDGPU.csdata,"",@progbits
; Kernel info:
; codeLenInByte = 1140
; TotalNumSgprs: 34
; NumVgprs: 24
; ScratchSize: 0
; MemoryBound: 0
; FloatMode: 240
; IeeeMode: 1
; LDSByteSize: 768 bytes/workgroup (compile time only)
; SGPRBlocks: 0
; VGPRBlocks: 2
; NumSGPRsForWavesPerEU: 34
; NumVGPRsForWavesPerEU: 24
; Occupancy: 16
; WaveLimiterHint : 1
; COMPUTE_PGM_RSRC2:SCRATCH_EN: 0
; COMPUTE_PGM_RSRC2:USER_SGPR: 2
; COMPUTE_PGM_RSRC2:TRAP_HANDLER: 0
; COMPUTE_PGM_RSRC2:TGID_X_EN: 1
; COMPUTE_PGM_RSRC2:TGID_Y_EN: 0
; COMPUTE_PGM_RSRC2:TGID_Z_EN: 1
; COMPUTE_PGM_RSRC2:TIDIG_COMP_CNT: 1
	.section	.text._ZL34rocblas_ger_double_buffered_kernelILb0ELi64ELi16ELi2E19rocblas_complex_numIdE24rocblas_internal_val_ptrIS1_EPKPKS1_PKPS1_EvbiiT4_lT5_lllSC_lllT6_lmli,"axG",@progbits,_ZL34rocblas_ger_double_buffered_kernelILb0ELi64ELi16ELi2E19rocblas_complex_numIdE24rocblas_internal_val_ptrIS1_EPKPKS1_PKPS1_EvbiiT4_lT5_lllSC_lllT6_lmli,comdat
	.globl	_ZL34rocblas_ger_double_buffered_kernelILb0ELi64ELi16ELi2E19rocblas_complex_numIdE24rocblas_internal_val_ptrIS1_EPKPKS1_PKPS1_EvbiiT4_lT5_lllSC_lllT6_lmli ; -- Begin function _ZL34rocblas_ger_double_buffered_kernelILb0ELi64ELi16ELi2E19rocblas_complex_numIdE24rocblas_internal_val_ptrIS1_EPKPKS1_PKPS1_EvbiiT4_lT5_lllSC_lllT6_lmli
	.p2align	8
	.type	_ZL34rocblas_ger_double_buffered_kernelILb0ELi64ELi16ELi2E19rocblas_complex_numIdE24rocblas_internal_val_ptrIS1_EPKPKS1_PKPS1_EvbiiT4_lT5_lllSC_lllT6_lmli,@function
_ZL34rocblas_ger_double_buffered_kernelILb0ELi64ELi16ELi2E19rocblas_complex_numIdE24rocblas_internal_val_ptrIS1_EPKPKS1_PKPS1_EvbiiT4_lT5_lllSC_lllT6_lmli: ; @_ZL34rocblas_ger_double_buffered_kernelILb0ELi64ELi16ELi2E19rocblas_complex_numIdE24rocblas_internal_val_ptrIS1_EPKPKS1_PKPS1_EvbiiT4_lT5_lllSC_lllT6_lmli
; %bb.0:
	s_load_b32 s33, s[0:1], 0x88
	s_lshr_b32 s2, ttmp7, 16
	s_wait_kmcnt 0x0
	s_cmp_ge_u32 s2, s33
	s_cbranch_scc1 .LBB55_8
; %bb.1:
	v_lshrrev_b32_e32 v1, 4, v0
	v_and_b32_e32 v2, 0x3ff, v0
	s_clause 0x4
	s_load_b128 s[16:19], s[0:1], 0x70
	s_load_b64 s[24:25], s[0:1], 0x68
	s_load_b64 s[26:27], s[0:1], 0x48
	s_load_b128 s[20:23], s[0:1], 0x50
	s_load_b256 s[4:11], s[0:1], 0x20
	v_and_b32_e32 v1, 0xffc0, v1
	s_clause 0x1
	s_load_b32 s28, s[0:1], 0x0
	s_load_b128 s[12:15], s[0:1], 0x10
	s_mov_b32 s3, 0
	s_delay_alu instid0(SALU_CYCLE_1) | instskip(SKIP_1) | instid1(VALU_DEP_1)
	s_mov_b32 s1, s3
	v_add_nc_u32_e32 v1, v1, v2
	v_lshrrev_b32_e32 v4, 4, v1
	s_delay_alu instid0(VALU_DEP_1) | instskip(SKIP_3) | instid1(VALU_DEP_2)
	v_or_b32_e32 v18, 1, v4
	v_and_b32_e32 v15, 0x1ffe, v4
	s_wait_kmcnt 0x0
	s_bitcmp1_b32 s28, 0
	v_mad_co_u64_u32 v[12:13], null, s22, v18, 0
	v_and_b32_e32 v17, 31, v0
	v_mad_co_u64_u32 v[8:9], null, s18, v15, 0
	v_mad_co_u64_u32 v[10:11], null, s22, v15, 0
	s_delay_alu instid0(VALU_DEP_3)
	v_or_b32_e32 v7, 32, v17
	v_mad_co_u64_u32 v[0:1], null, s10, v17, 0
	s_cselect_b32 s38, -1, 0
	v_mov_b32_e32 v4, v9
	v_mad_co_u64_u32 v[2:3], null, s10, v7, 0
	s_and_b32 s0, ttmp7, 0xffff
	s_lshl_b32 s28, ttmp9, 6
	v_mad_co_u64_u32 v[4:5], null, s19, v15, v[4:5]
	s_lshl_b32 s0, s0, 6
	s_ashr_i32 s29, s28, 31
	v_mad_co_u64_u32 v[5:6], null, s11, v17, v[1:2]
	v_dual_mov_b32 v1, v11 :: v_dual_mov_b32 v6, v13
	v_mad_co_u64_u32 v[13:14], null, s11, v7, v[3:4]
	s_mul_u64 s[30:31], s[18:19], s[0:1]
	v_mad_co_u64_u32 v[15:16], null, s23, v15, v[1:2]
	v_mad_co_u64_u32 v[6:7], null, s23, v18, v[6:7]
	s_mul_u64 s[36:37], s[22:23], s[0:1]
	s_xor_b32 s0, s38, -1
	v_mov_b32_e32 v9, v4
	v_cndmask_b32_e64 v4, 0, 1, s0
	v_mov_b32_e32 v1, v5
	v_mov_b32_e32 v3, v13
	;; [unrolled: 1-line block ×4, first 2 shown]
	v_cmp_ne_u32_e64 s0, 1, v4
	v_lshlrev_b64_e32 v[4:5], 4, v[0:1]
	v_lshlrev_b64_e32 v[6:7], 4, v[2:3]
	;; [unrolled: 1-line block ×5, first 2 shown]
	v_dual_mov_b32 v14, 0 :: v_dual_lshlrev_b32 v15, 4, v17
	s_mul_u64 s[34:35], s[10:11], s[28:29]
	s_lshl_b64 s[10:11], s[16:17], 4
	s_lshl_b64 s[16:17], s[20:21], 4
	;; [unrolled: 1-line block ×8, first 2 shown]
	s_branch .LBB55_3
.LBB55_2:                               ;   in Loop: Header=BB55_3 Depth=1
	s_add_co_i32 s2, s2, 0x10000
	s_delay_alu instid0(SALU_CYCLE_1)
	s_cmp_lt_u32 s2, s33
	s_cbranch_scc0 .LBB55_8
.LBB55_3:                               ; =>This Inner Loop Header: Depth=1
	s_and_b32 vcc_lo, exec_lo, s0
	s_wait_alu 0xfffe
	s_cbranch_vccnz .LBB55_5
; %bb.4:                                ;   in Loop: Header=BB55_3 Depth=1
	s_mul_u64 s[34:35], s[4:5], s[2:3]
	s_wait_alu 0xfffe
	s_lshl_b64 s[34:35], s[34:35], 4
	s_wait_alu 0xfffe
	s_add_nc_u64 s[34:35], s[12:13], s[34:35]
	global_load_b128 v[0:3], v14, s[34:35]
	s_branch .LBB55_6
.LBB55_5:                               ;   in Loop: Header=BB55_3 Depth=1
	v_dual_mov_b32 v2, s14 :: v_dual_mov_b32 v3, s15
	v_dual_mov_b32 v0, s12 :: v_dual_mov_b32 v1, s13
.LBB55_6:                               ;   in Loop: Header=BB55_3 Depth=1
	s_wait_loadcnt 0x0
	s_delay_alu instid0(VALU_DEP_1) | instskip(NEXT) | instid1(VALU_DEP_3)
	v_cmp_neq_f64_e32 vcc_lo, 0, v[0:1]
	v_cmp_neq_f64_e64 s1, 0, v[2:3]
	s_or_b32 s1, vcc_lo, s1
	s_wait_alu 0xfffe
	s_and_not1_b32 vcc_lo, exec_lo, s1
	s_wait_alu 0xfffe
	s_cbranch_vccnz .LBB55_2
; %bb.7:                                ;   in Loop: Header=BB55_3 Depth=1
	s_lshl_b64 s[34:35], s[2:3], 3
	s_wait_alu 0xfffe
	s_add_nc_u64 s[36:37], s[6:7], s[34:35]
	s_load_b64 s[36:37], s[36:37], 0x0
	s_wait_kmcnt 0x0
	s_add_nc_u64 s[36:37], s[36:37], s[8:9]
	s_wait_alu 0xfffe
	s_add_nc_u64 s[36:37], s[36:37], s[28:29]
	s_wait_alu 0xfffe
	v_add_co_u32 v16, vcc_lo, s36, v4
	s_wait_alu 0xfffd
	v_add_co_ci_u32_e64 v17, null, s37, v5, vcc_lo
	v_add_co_u32 v20, vcc_lo, s36, v6
	s_wait_alu 0xfffd
	v_add_co_ci_u32_e64 v21, null, s37, v7, vcc_lo
	s_clause 0x1
	flat_load_b128 v[16:19], v[16:17]
	flat_load_b128 v[20:23], v[20:21]
	s_add_nc_u64 s[36:37], s[26:27], s[34:35]
	s_add_nc_u64 s[34:35], s[24:25], s[34:35]
	s_load_b64 s[36:37], s[36:37], 0x0
	s_wait_kmcnt 0x0
	s_add_nc_u64 s[36:37], s[36:37], s[16:17]
	s_wait_alu 0xfffe
	s_add_nc_u64 s[36:37], s[36:37], s[30:31]
	s_wait_alu 0xfffe
	v_add_co_u32 v24, vcc_lo, s36, v10
	s_wait_alu 0xfffd
	v_add_co_ci_u32_e64 v25, null, s37, v11, vcc_lo
	v_add_co_u32 v28, vcc_lo, s36, v12
	s_wait_alu 0xfffd
	v_add_co_ci_u32_e64 v29, null, s37, v13, vcc_lo
	s_clause 0x1
	flat_load_b128 v[24:27], v[24:25]
	flat_load_b128 v[28:31], v[28:29]
	s_load_b64 s[34:35], s[34:35], 0x0
	s_wait_kmcnt 0x0
	s_add_nc_u64 s[34:35], s[34:35], s[10:11]
	s_wait_alu 0xfffe
	s_add_nc_u64 s[34:35], s[34:35], s[20:21]
	s_wait_alu 0xfffe
	;; [unrolled: 2-line block ×3, first 2 shown]
	v_add_co_u32 v32, vcc_lo, s34, v8
	s_wait_alu 0xfffd
	v_add_co_ci_u32_e64 v33, null, s35, v9, vcc_lo
	s_delay_alu instid0(VALU_DEP_2) | instskip(SKIP_1) | instid1(VALU_DEP_2)
	v_add_co_u32 v48, vcc_lo, v32, v15
	s_wait_alu 0xfffd
	v_add_co_ci_u32_e64 v49, null, 0, v33, vcc_lo
	s_delay_alu instid0(VALU_DEP_2) | instskip(SKIP_1) | instid1(VALU_DEP_2)
	v_add_co_u32 v50, vcc_lo, v48, s18
	s_wait_alu 0xfffd
	v_add_co_ci_u32_e64 v51, null, s19, v49, vcc_lo
	s_clause 0x3
	flat_load_b128 v[32:35], v[48:49]
	flat_load_b128 v[36:39], v[50:51]
	flat_load_b128 v[40:43], v[48:49] offset:512
	flat_load_b128 v[44:47], v[50:51] offset:512
	s_wait_loadcnt_dscnt 0x707
	v_mul_f64_e32 v[52:53], v[0:1], v[18:19]
	v_mul_f64_e32 v[18:19], v[2:3], v[18:19]
	s_wait_loadcnt_dscnt 0x606
	v_mul_f64_e32 v[54:55], v[0:1], v[22:23]
	v_mul_f64_e32 v[22:23], v[2:3], v[22:23]
	s_delay_alu instid0(VALU_DEP_4) | instskip(NEXT) | instid1(VALU_DEP_4)
	v_fma_f64 v[52:53], v[2:3], v[16:17], v[52:53]
	v_fma_f64 v[16:17], v[0:1], v[16:17], -v[18:19]
	s_delay_alu instid0(VALU_DEP_4) | instskip(NEXT) | instid1(VALU_DEP_4)
	v_fma_f64 v[2:3], v[2:3], v[20:21], v[54:55]
	v_fma_f64 v[0:1], v[0:1], v[20:21], -v[22:23]
	s_wait_loadcnt_dscnt 0x505
	s_delay_alu instid0(VALU_DEP_4) | instskip(NEXT) | instid1(VALU_DEP_4)
	v_mul_f64_e32 v[18:19], v[52:53], v[26:27]
	v_mul_f64_e32 v[20:21], v[16:17], v[26:27]
	s_wait_loadcnt_dscnt 0x404
	v_mul_f64_e32 v[22:23], v[52:53], v[30:31]
	v_mul_f64_e32 v[54:55], v[16:17], v[30:31]
	;; [unrolled: 1-line block ×6, first 2 shown]
	v_fma_f64 v[18:19], v[16:17], v[24:25], -v[18:19]
	v_fma_f64 v[20:21], v[52:53], v[24:25], v[20:21]
	v_fma_f64 v[16:17], v[16:17], v[28:29], -v[22:23]
	v_fma_f64 v[22:23], v[52:53], v[28:29], v[54:55]
	;; [unrolled: 2-line block ×4, first 2 shown]
	s_wait_loadcnt_dscnt 0x303
	v_add_f64_e32 v[0:1], v[32:33], v[18:19]
	v_add_f64_e32 v[2:3], v[20:21], v[34:35]
	s_wait_loadcnt_dscnt 0x202
	v_add_f64_e32 v[16:17], v[36:37], v[16:17]
	v_add_f64_e32 v[18:19], v[22:23], v[38:39]
	;; [unrolled: 3-line block ×4, first 2 shown]
	s_clause 0x3
	flat_store_b128 v[48:49], v[0:3]
	flat_store_b128 v[50:51], v[16:19]
	flat_store_b128 v[48:49], v[20:23] offset:512
	flat_store_b128 v[50:51], v[24:27] offset:512
	s_branch .LBB55_2
.LBB55_8:
	s_endpgm
	.section	.rodata,"a",@progbits
	.p2align	6, 0x0
	.amdhsa_kernel _ZL34rocblas_ger_double_buffered_kernelILb0ELi64ELi16ELi2E19rocblas_complex_numIdE24rocblas_internal_val_ptrIS1_EPKPKS1_PKPS1_EvbiiT4_lT5_lllSC_lllT6_lmli
		.amdhsa_group_segment_fixed_size 0
		.amdhsa_private_segment_fixed_size 0
		.amdhsa_kernarg_size 140
		.amdhsa_user_sgpr_count 2
		.amdhsa_user_sgpr_dispatch_ptr 0
		.amdhsa_user_sgpr_queue_ptr 0
		.amdhsa_user_sgpr_kernarg_segment_ptr 1
		.amdhsa_user_sgpr_dispatch_id 0
		.amdhsa_user_sgpr_private_segment_size 0
		.amdhsa_wavefront_size32 1
		.amdhsa_uses_dynamic_stack 0
		.amdhsa_enable_private_segment 0
		.amdhsa_system_sgpr_workgroup_id_x 1
		.amdhsa_system_sgpr_workgroup_id_y 1
		.amdhsa_system_sgpr_workgroup_id_z 1
		.amdhsa_system_sgpr_workgroup_info 0
		.amdhsa_system_vgpr_workitem_id 1
		.amdhsa_next_free_vgpr 60
		.amdhsa_next_free_sgpr 39
		.amdhsa_reserve_vcc 1
		.amdhsa_float_round_mode_32 0
		.amdhsa_float_round_mode_16_64 0
		.amdhsa_float_denorm_mode_32 3
		.amdhsa_float_denorm_mode_16_64 3
		.amdhsa_fp16_overflow 0
		.amdhsa_workgroup_processor_mode 1
		.amdhsa_memory_ordered 1
		.amdhsa_forward_progress 1
		.amdhsa_inst_pref_size 10
		.amdhsa_round_robin_scheduling 0
		.amdhsa_exception_fp_ieee_invalid_op 0
		.amdhsa_exception_fp_denorm_src 0
		.amdhsa_exception_fp_ieee_div_zero 0
		.amdhsa_exception_fp_ieee_overflow 0
		.amdhsa_exception_fp_ieee_underflow 0
		.amdhsa_exception_fp_ieee_inexact 0
		.amdhsa_exception_int_div_zero 0
	.end_amdhsa_kernel
	.section	.text._ZL34rocblas_ger_double_buffered_kernelILb0ELi64ELi16ELi2E19rocblas_complex_numIdE24rocblas_internal_val_ptrIS1_EPKPKS1_PKPS1_EvbiiT4_lT5_lllSC_lllT6_lmli,"axG",@progbits,_ZL34rocblas_ger_double_buffered_kernelILb0ELi64ELi16ELi2E19rocblas_complex_numIdE24rocblas_internal_val_ptrIS1_EPKPKS1_PKPS1_EvbiiT4_lT5_lllSC_lllT6_lmli,comdat
.Lfunc_end55:
	.size	_ZL34rocblas_ger_double_buffered_kernelILb0ELi64ELi16ELi2E19rocblas_complex_numIdE24rocblas_internal_val_ptrIS1_EPKPKS1_PKPS1_EvbiiT4_lT5_lllSC_lllT6_lmli, .Lfunc_end55-_ZL34rocblas_ger_double_buffered_kernelILb0ELi64ELi16ELi2E19rocblas_complex_numIdE24rocblas_internal_val_ptrIS1_EPKPKS1_PKPS1_EvbiiT4_lT5_lllSC_lllT6_lmli
                                        ; -- End function
	.set _ZL34rocblas_ger_double_buffered_kernelILb0ELi64ELi16ELi2E19rocblas_complex_numIdE24rocblas_internal_val_ptrIS1_EPKPKS1_PKPS1_EvbiiT4_lT5_lllSC_lllT6_lmli.num_vgpr, 60
	.set _ZL34rocblas_ger_double_buffered_kernelILb0ELi64ELi16ELi2E19rocblas_complex_numIdE24rocblas_internal_val_ptrIS1_EPKPKS1_PKPS1_EvbiiT4_lT5_lllSC_lllT6_lmli.num_agpr, 0
	.set _ZL34rocblas_ger_double_buffered_kernelILb0ELi64ELi16ELi2E19rocblas_complex_numIdE24rocblas_internal_val_ptrIS1_EPKPKS1_PKPS1_EvbiiT4_lT5_lllSC_lllT6_lmli.numbered_sgpr, 39
	.set _ZL34rocblas_ger_double_buffered_kernelILb0ELi64ELi16ELi2E19rocblas_complex_numIdE24rocblas_internal_val_ptrIS1_EPKPKS1_PKPS1_EvbiiT4_lT5_lllSC_lllT6_lmli.num_named_barrier, 0
	.set _ZL34rocblas_ger_double_buffered_kernelILb0ELi64ELi16ELi2E19rocblas_complex_numIdE24rocblas_internal_val_ptrIS1_EPKPKS1_PKPS1_EvbiiT4_lT5_lllSC_lllT6_lmli.private_seg_size, 0
	.set _ZL34rocblas_ger_double_buffered_kernelILb0ELi64ELi16ELi2E19rocblas_complex_numIdE24rocblas_internal_val_ptrIS1_EPKPKS1_PKPS1_EvbiiT4_lT5_lllSC_lllT6_lmli.uses_vcc, 1
	.set _ZL34rocblas_ger_double_buffered_kernelILb0ELi64ELi16ELi2E19rocblas_complex_numIdE24rocblas_internal_val_ptrIS1_EPKPKS1_PKPS1_EvbiiT4_lT5_lllSC_lllT6_lmli.uses_flat_scratch, 1
	.set _ZL34rocblas_ger_double_buffered_kernelILb0ELi64ELi16ELi2E19rocblas_complex_numIdE24rocblas_internal_val_ptrIS1_EPKPKS1_PKPS1_EvbiiT4_lT5_lllSC_lllT6_lmli.has_dyn_sized_stack, 0
	.set _ZL34rocblas_ger_double_buffered_kernelILb0ELi64ELi16ELi2E19rocblas_complex_numIdE24rocblas_internal_val_ptrIS1_EPKPKS1_PKPS1_EvbiiT4_lT5_lllSC_lllT6_lmli.has_recursion, 0
	.set _ZL34rocblas_ger_double_buffered_kernelILb0ELi64ELi16ELi2E19rocblas_complex_numIdE24rocblas_internal_val_ptrIS1_EPKPKS1_PKPS1_EvbiiT4_lT5_lllSC_lllT6_lmli.has_indirect_call, 0
	.section	.AMDGPU.csdata,"",@progbits
; Kernel info:
; codeLenInByte = 1168
; TotalNumSgprs: 41
; NumVgprs: 60
; ScratchSize: 0
; MemoryBound: 1
; FloatMode: 240
; IeeeMode: 1
; LDSByteSize: 0 bytes/workgroup (compile time only)
; SGPRBlocks: 0
; VGPRBlocks: 7
; NumSGPRsForWavesPerEU: 41
; NumVGPRsForWavesPerEU: 60
; Occupancy: 16
; WaveLimiterHint : 1
; COMPUTE_PGM_RSRC2:SCRATCH_EN: 0
; COMPUTE_PGM_RSRC2:USER_SGPR: 2
; COMPUTE_PGM_RSRC2:TRAP_HANDLER: 0
; COMPUTE_PGM_RSRC2:TGID_X_EN: 1
; COMPUTE_PGM_RSRC2:TGID_Y_EN: 1
; COMPUTE_PGM_RSRC2:TGID_Z_EN: 1
; COMPUTE_PGM_RSRC2:TIDIG_COMP_CNT: 1
	.section	.text._ZL26rocblas_sger_gfx942_kernelILi256E19rocblas_complex_numIdEPKS1_PKS3_PKPS1_EviiT1_lT2_lllSA_lllT3_lll,"axG",@progbits,_ZL26rocblas_sger_gfx942_kernelILi256E19rocblas_complex_numIdEPKS1_PKS3_PKPS1_EviiT1_lT2_lllSA_lllT3_lll,comdat
	.globl	_ZL26rocblas_sger_gfx942_kernelILi256E19rocblas_complex_numIdEPKS1_PKS3_PKPS1_EviiT1_lT2_lllSA_lllT3_lll ; -- Begin function _ZL26rocblas_sger_gfx942_kernelILi256E19rocblas_complex_numIdEPKS1_PKS3_PKPS1_EviiT1_lT2_lllSA_lllT3_lll
	.p2align	8
	.type	_ZL26rocblas_sger_gfx942_kernelILi256E19rocblas_complex_numIdEPKS1_PKS3_PKPS1_EviiT1_lT2_lllSA_lllT3_lll,@function
_ZL26rocblas_sger_gfx942_kernelILi256E19rocblas_complex_numIdEPKS1_PKS3_PKPS1_EviiT1_lT2_lllSA_lllT3_lll: ; @_ZL26rocblas_sger_gfx942_kernelILi256E19rocblas_complex_numIdEPKS1_PKS3_PKPS1_EviiT1_lT2_lllSA_lllT3_lll
; %bb.0:
	s_endpgm
	.section	.rodata,"a",@progbits
	.p2align	6, 0x0
	.amdhsa_kernel _ZL26rocblas_sger_gfx942_kernelILi256E19rocblas_complex_numIdEPKS1_PKS3_PKPS1_EviiT1_lT2_lllSA_lllT3_lll
		.amdhsa_group_segment_fixed_size 0
		.amdhsa_private_segment_fixed_size 0
		.amdhsa_kernarg_size 120
		.amdhsa_user_sgpr_count 2
		.amdhsa_user_sgpr_dispatch_ptr 0
		.amdhsa_user_sgpr_queue_ptr 0
		.amdhsa_user_sgpr_kernarg_segment_ptr 1
		.amdhsa_user_sgpr_dispatch_id 0
		.amdhsa_user_sgpr_private_segment_size 0
		.amdhsa_wavefront_size32 1
		.amdhsa_uses_dynamic_stack 0
		.amdhsa_enable_private_segment 0
		.amdhsa_system_sgpr_workgroup_id_x 1
		.amdhsa_system_sgpr_workgroup_id_y 0
		.amdhsa_system_sgpr_workgroup_id_z 0
		.amdhsa_system_sgpr_workgroup_info 0
		.amdhsa_system_vgpr_workitem_id 0
		.amdhsa_next_free_vgpr 1
		.amdhsa_next_free_sgpr 1
		.amdhsa_reserve_vcc 0
		.amdhsa_float_round_mode_32 0
		.amdhsa_float_round_mode_16_64 0
		.amdhsa_float_denorm_mode_32 3
		.amdhsa_float_denorm_mode_16_64 3
		.amdhsa_fp16_overflow 0
		.amdhsa_workgroup_processor_mode 1
		.amdhsa_memory_ordered 1
		.amdhsa_forward_progress 1
		.amdhsa_inst_pref_size 1
		.amdhsa_round_robin_scheduling 0
		.amdhsa_exception_fp_ieee_invalid_op 0
		.amdhsa_exception_fp_denorm_src 0
		.amdhsa_exception_fp_ieee_div_zero 0
		.amdhsa_exception_fp_ieee_overflow 0
		.amdhsa_exception_fp_ieee_underflow 0
		.amdhsa_exception_fp_ieee_inexact 0
		.amdhsa_exception_int_div_zero 0
	.end_amdhsa_kernel
	.section	.text._ZL26rocblas_sger_gfx942_kernelILi256E19rocblas_complex_numIdEPKS1_PKS3_PKPS1_EviiT1_lT2_lllSA_lllT3_lll,"axG",@progbits,_ZL26rocblas_sger_gfx942_kernelILi256E19rocblas_complex_numIdEPKS1_PKS3_PKPS1_EviiT1_lT2_lllSA_lllT3_lll,comdat
.Lfunc_end56:
	.size	_ZL26rocblas_sger_gfx942_kernelILi256E19rocblas_complex_numIdEPKS1_PKS3_PKPS1_EviiT1_lT2_lllSA_lllT3_lll, .Lfunc_end56-_ZL26rocblas_sger_gfx942_kernelILi256E19rocblas_complex_numIdEPKS1_PKS3_PKPS1_EviiT1_lT2_lllSA_lllT3_lll
                                        ; -- End function
	.set _ZL26rocblas_sger_gfx942_kernelILi256E19rocblas_complex_numIdEPKS1_PKS3_PKPS1_EviiT1_lT2_lllSA_lllT3_lll.num_vgpr, 0
	.set _ZL26rocblas_sger_gfx942_kernelILi256E19rocblas_complex_numIdEPKS1_PKS3_PKPS1_EviiT1_lT2_lllSA_lllT3_lll.num_agpr, 0
	.set _ZL26rocblas_sger_gfx942_kernelILi256E19rocblas_complex_numIdEPKS1_PKS3_PKPS1_EviiT1_lT2_lllSA_lllT3_lll.numbered_sgpr, 0
	.set _ZL26rocblas_sger_gfx942_kernelILi256E19rocblas_complex_numIdEPKS1_PKS3_PKPS1_EviiT1_lT2_lllSA_lllT3_lll.num_named_barrier, 0
	.set _ZL26rocblas_sger_gfx942_kernelILi256E19rocblas_complex_numIdEPKS1_PKS3_PKPS1_EviiT1_lT2_lllSA_lllT3_lll.private_seg_size, 0
	.set _ZL26rocblas_sger_gfx942_kernelILi256E19rocblas_complex_numIdEPKS1_PKS3_PKPS1_EviiT1_lT2_lllSA_lllT3_lll.uses_vcc, 0
	.set _ZL26rocblas_sger_gfx942_kernelILi256E19rocblas_complex_numIdEPKS1_PKS3_PKPS1_EviiT1_lT2_lllSA_lllT3_lll.uses_flat_scratch, 0
	.set _ZL26rocblas_sger_gfx942_kernelILi256E19rocblas_complex_numIdEPKS1_PKS3_PKPS1_EviiT1_lT2_lllSA_lllT3_lll.has_dyn_sized_stack, 0
	.set _ZL26rocblas_sger_gfx942_kernelILi256E19rocblas_complex_numIdEPKS1_PKS3_PKPS1_EviiT1_lT2_lllSA_lllT3_lll.has_recursion, 0
	.set _ZL26rocblas_sger_gfx942_kernelILi256E19rocblas_complex_numIdEPKS1_PKS3_PKPS1_EviiT1_lT2_lllSA_lllT3_lll.has_indirect_call, 0
	.section	.AMDGPU.csdata,"",@progbits
; Kernel info:
; codeLenInByte = 4
; TotalNumSgprs: 0
; NumVgprs: 0
; ScratchSize: 0
; MemoryBound: 0
; FloatMode: 240
; IeeeMode: 1
; LDSByteSize: 0 bytes/workgroup (compile time only)
; SGPRBlocks: 0
; VGPRBlocks: 0
; NumSGPRsForWavesPerEU: 1
; NumVGPRsForWavesPerEU: 1
; Occupancy: 16
; WaveLimiterHint : 0
; COMPUTE_PGM_RSRC2:SCRATCH_EN: 0
; COMPUTE_PGM_RSRC2:USER_SGPR: 2
; COMPUTE_PGM_RSRC2:TRAP_HANDLER: 0
; COMPUTE_PGM_RSRC2:TGID_X_EN: 1
; COMPUTE_PGM_RSRC2:TGID_Y_EN: 0
; COMPUTE_PGM_RSRC2:TGID_Z_EN: 0
; COMPUTE_PGM_RSRC2:TIDIG_COMP_CNT: 0
	.section	.text._ZL26rocblas_sger_gfx942_kernelILi256E19rocblas_complex_numIdES1_PKPKS1_PKPS1_EviiT1_lT2_lllSA_lllT3_lll,"axG",@progbits,_ZL26rocblas_sger_gfx942_kernelILi256E19rocblas_complex_numIdES1_PKPKS1_PKPS1_EviiT1_lT2_lllSA_lllT3_lll,comdat
	.globl	_ZL26rocblas_sger_gfx942_kernelILi256E19rocblas_complex_numIdES1_PKPKS1_PKPS1_EviiT1_lT2_lllSA_lllT3_lll ; -- Begin function _ZL26rocblas_sger_gfx942_kernelILi256E19rocblas_complex_numIdES1_PKPKS1_PKPS1_EviiT1_lT2_lllSA_lllT3_lll
	.p2align	8
	.type	_ZL26rocblas_sger_gfx942_kernelILi256E19rocblas_complex_numIdES1_PKPKS1_PKPS1_EviiT1_lT2_lllSA_lllT3_lll,@function
_ZL26rocblas_sger_gfx942_kernelILi256E19rocblas_complex_numIdES1_PKPKS1_PKPS1_EviiT1_lT2_lllSA_lllT3_lll: ; @_ZL26rocblas_sger_gfx942_kernelILi256E19rocblas_complex_numIdES1_PKPKS1_PKPS1_EviiT1_lT2_lllSA_lllT3_lll
; %bb.0:
	s_endpgm
	.section	.rodata,"a",@progbits
	.p2align	6, 0x0
	.amdhsa_kernel _ZL26rocblas_sger_gfx942_kernelILi256E19rocblas_complex_numIdES1_PKPKS1_PKPS1_EviiT1_lT2_lllSA_lllT3_lll
		.amdhsa_group_segment_fixed_size 0
		.amdhsa_private_segment_fixed_size 0
		.amdhsa_kernarg_size 128
		.amdhsa_user_sgpr_count 2
		.amdhsa_user_sgpr_dispatch_ptr 0
		.amdhsa_user_sgpr_queue_ptr 0
		.amdhsa_user_sgpr_kernarg_segment_ptr 1
		.amdhsa_user_sgpr_dispatch_id 0
		.amdhsa_user_sgpr_private_segment_size 0
		.amdhsa_wavefront_size32 1
		.amdhsa_uses_dynamic_stack 0
		.amdhsa_enable_private_segment 0
		.amdhsa_system_sgpr_workgroup_id_x 1
		.amdhsa_system_sgpr_workgroup_id_y 0
		.amdhsa_system_sgpr_workgroup_id_z 0
		.amdhsa_system_sgpr_workgroup_info 0
		.amdhsa_system_vgpr_workitem_id 0
		.amdhsa_next_free_vgpr 1
		.amdhsa_next_free_sgpr 1
		.amdhsa_reserve_vcc 0
		.amdhsa_float_round_mode_32 0
		.amdhsa_float_round_mode_16_64 0
		.amdhsa_float_denorm_mode_32 3
		.amdhsa_float_denorm_mode_16_64 3
		.amdhsa_fp16_overflow 0
		.amdhsa_workgroup_processor_mode 1
		.amdhsa_memory_ordered 1
		.amdhsa_forward_progress 1
		.amdhsa_inst_pref_size 1
		.amdhsa_round_robin_scheduling 0
		.amdhsa_exception_fp_ieee_invalid_op 0
		.amdhsa_exception_fp_denorm_src 0
		.amdhsa_exception_fp_ieee_div_zero 0
		.amdhsa_exception_fp_ieee_overflow 0
		.amdhsa_exception_fp_ieee_underflow 0
		.amdhsa_exception_fp_ieee_inexact 0
		.amdhsa_exception_int_div_zero 0
	.end_amdhsa_kernel
	.section	.text._ZL26rocblas_sger_gfx942_kernelILi256E19rocblas_complex_numIdES1_PKPKS1_PKPS1_EviiT1_lT2_lllSA_lllT3_lll,"axG",@progbits,_ZL26rocblas_sger_gfx942_kernelILi256E19rocblas_complex_numIdES1_PKPKS1_PKPS1_EviiT1_lT2_lllSA_lllT3_lll,comdat
.Lfunc_end57:
	.size	_ZL26rocblas_sger_gfx942_kernelILi256E19rocblas_complex_numIdES1_PKPKS1_PKPS1_EviiT1_lT2_lllSA_lllT3_lll, .Lfunc_end57-_ZL26rocblas_sger_gfx942_kernelILi256E19rocblas_complex_numIdES1_PKPKS1_PKPS1_EviiT1_lT2_lllSA_lllT3_lll
                                        ; -- End function
	.set _ZL26rocblas_sger_gfx942_kernelILi256E19rocblas_complex_numIdES1_PKPKS1_PKPS1_EviiT1_lT2_lllSA_lllT3_lll.num_vgpr, 0
	.set _ZL26rocblas_sger_gfx942_kernelILi256E19rocblas_complex_numIdES1_PKPKS1_PKPS1_EviiT1_lT2_lllSA_lllT3_lll.num_agpr, 0
	.set _ZL26rocblas_sger_gfx942_kernelILi256E19rocblas_complex_numIdES1_PKPKS1_PKPS1_EviiT1_lT2_lllSA_lllT3_lll.numbered_sgpr, 0
	.set _ZL26rocblas_sger_gfx942_kernelILi256E19rocblas_complex_numIdES1_PKPKS1_PKPS1_EviiT1_lT2_lllSA_lllT3_lll.num_named_barrier, 0
	.set _ZL26rocblas_sger_gfx942_kernelILi256E19rocblas_complex_numIdES1_PKPKS1_PKPS1_EviiT1_lT2_lllSA_lllT3_lll.private_seg_size, 0
	.set _ZL26rocblas_sger_gfx942_kernelILi256E19rocblas_complex_numIdES1_PKPKS1_PKPS1_EviiT1_lT2_lllSA_lllT3_lll.uses_vcc, 0
	.set _ZL26rocblas_sger_gfx942_kernelILi256E19rocblas_complex_numIdES1_PKPKS1_PKPS1_EviiT1_lT2_lllSA_lllT3_lll.uses_flat_scratch, 0
	.set _ZL26rocblas_sger_gfx942_kernelILi256E19rocblas_complex_numIdES1_PKPKS1_PKPS1_EviiT1_lT2_lllSA_lllT3_lll.has_dyn_sized_stack, 0
	.set _ZL26rocblas_sger_gfx942_kernelILi256E19rocblas_complex_numIdES1_PKPKS1_PKPS1_EviiT1_lT2_lllSA_lllT3_lll.has_recursion, 0
	.set _ZL26rocblas_sger_gfx942_kernelILi256E19rocblas_complex_numIdES1_PKPKS1_PKPS1_EviiT1_lT2_lllSA_lllT3_lll.has_indirect_call, 0
	.section	.AMDGPU.csdata,"",@progbits
; Kernel info:
; codeLenInByte = 4
; TotalNumSgprs: 0
; NumVgprs: 0
; ScratchSize: 0
; MemoryBound: 0
; FloatMode: 240
; IeeeMode: 1
; LDSByteSize: 0 bytes/workgroup (compile time only)
; SGPRBlocks: 0
; VGPRBlocks: 0
; NumSGPRsForWavesPerEU: 1
; NumVGPRsForWavesPerEU: 1
; Occupancy: 16
; WaveLimiterHint : 0
; COMPUTE_PGM_RSRC2:SCRATCH_EN: 0
; COMPUTE_PGM_RSRC2:USER_SGPR: 2
; COMPUTE_PGM_RSRC2:TRAP_HANDLER: 0
; COMPUTE_PGM_RSRC2:TGID_X_EN: 1
; COMPUTE_PGM_RSRC2:TGID_Y_EN: 0
; COMPUTE_PGM_RSRC2:TGID_Z_EN: 0
; COMPUTE_PGM_RSRC2:TIDIG_COMP_CNT: 0
	.section	.text._ZL19rocblas_sger_kernelILi1024E19rocblas_complex_numIdEPKS1_PKS3_PKPS1_EviiT1_lT2_lllSA_lllT3_lmli,"axG",@progbits,_ZL19rocblas_sger_kernelILi1024E19rocblas_complex_numIdEPKS1_PKS3_PKPS1_EviiT1_lT2_lllSA_lllT3_lmli,comdat
	.globl	_ZL19rocblas_sger_kernelILi1024E19rocblas_complex_numIdEPKS1_PKS3_PKPS1_EviiT1_lT2_lllSA_lllT3_lmli ; -- Begin function _ZL19rocblas_sger_kernelILi1024E19rocblas_complex_numIdEPKS1_PKS3_PKPS1_EviiT1_lT2_lllSA_lllT3_lmli
	.p2align	8
	.type	_ZL19rocblas_sger_kernelILi1024E19rocblas_complex_numIdEPKS1_PKS3_PKPS1_EviiT1_lT2_lllSA_lllT3_lmli,@function
_ZL19rocblas_sger_kernelILi1024E19rocblas_complex_numIdEPKS1_PKS3_PKPS1_EviiT1_lT2_lllSA_lllT3_lmli: ; @_ZL19rocblas_sger_kernelILi1024E19rocblas_complex_numIdEPKS1_PKS3_PKPS1_EviiT1_lT2_lllSA_lllT3_lmli
; %bb.0:
	s_load_b32 s20, s[0:1], 0x78
	s_lshr_b32 s2, ttmp7, 16
	s_wait_kmcnt 0x0
	s_cmp_ge_u32 s2, s20
	s_cbranch_scc1 .LBB58_8
; %bb.1:
	s_clause 0x7
	s_load_b128 s[8:11], s[0:1], 0x20
	s_load_b32 s21, s[0:1], 0x0
	s_load_b128 s[24:27], s[0:1], 0x60
	s_load_b128 s[28:31], s[0:1], 0x40
	s_load_b64 s[12:13], s[0:1], 0x18
	s_load_b64 s[14:15], s[0:1], 0x58
	;; [unrolled: 1-line block ×3, first 2 shown]
	s_load_b128 s[4:7], s[0:1], 0x8
	s_mov_b32 s18, ttmp9
	s_ashr_i32 s19, ttmp9, 31
	v_mov_b32_e32 v9, 0
	s_mov_b32 s3, 0
	s_wait_kmcnt 0x0
	v_mad_co_u64_u32 v[1:2], null, s10, v0, 0
	v_cmp_gt_i32_e64 s0, s21, v0
	s_mul_u64 s[22:23], s[26:27], s[18:19]
	s_lshl_b64 s[24:25], s[24:25], 4
	s_lshl_b64 s[22:23], s[22:23], 4
	;; [unrolled: 1-line block ×3, first 2 shown]
	s_add_nc_u64 s[22:23], s[22:23], s[24:25]
	v_mad_co_u64_u32 v[2:3], null, s11, v0, v[2:3]
	v_cndmask_b32_e64 v3, 0, v0, s0
	s_mul_u64 s[18:19], s[30:31], s[18:19]
	s_delay_alu instid0(SALU_CYCLE_1) | instskip(NEXT) | instid1(VALU_DEP_1)
	s_lshl_b64 s[18:19], s[18:19], 4
	v_lshlrev_b32_e32 v3, 4, v3
	s_delay_alu instid0(VALU_DEP_3) | instskip(NEXT) | instid1(VALU_DEP_2)
	v_lshlrev_b64_e32 v[1:2], 4, v[1:2]
	v_add_co_u32 v3, s1, s22, v3
	s_delay_alu instid0(VALU_DEP_2) | instskip(SKIP_2) | instid1(VALU_DEP_3)
	v_add_co_u32 v1, vcc_lo, v1, s8
	s_wait_alu 0xf1ff
	v_add_co_ci_u32_e64 v10, null, s23, 0, s1
	v_or_b32_e32 v11, 8, v3
	v_add_co_ci_u32_e64 v12, null, s9, v2, vcc_lo
	v_or_b32_e32 v13, 8, v1
	s_lshl_b64 s[8:9], s[10:11], 14
	s_lshl_b64 s[10:11], s[28:29], 4
	s_branch .LBB58_4
.LBB58_2:                               ;   in Loop: Header=BB58_4 Depth=1
	s_wait_alu 0xfffe
	s_or_b32 exec_lo, exec_lo, s22
.LBB58_3:                               ;   in Loop: Header=BB58_4 Depth=1
	s_add_co_i32 s2, s2, 0x10000
	s_delay_alu instid0(SALU_CYCLE_1)
	s_cmp_lt_u32 s2, s20
	s_cbranch_scc0 .LBB58_8
.LBB58_4:                               ; =>This Loop Header: Depth=1
                                        ;     Child Loop BB58_7 Depth 2
	s_mul_u64 s[22:23], s[6:7], s[2:3]
	s_wait_alu 0xfffe
	s_lshl_b64 s[22:23], s[22:23], 4
	s_wait_alu 0xfffe
	s_add_nc_u64 s[22:23], s[4:5], s[22:23]
	global_load_b128 v[1:4], v9, s[22:23]
	s_wait_loadcnt 0x0
	v_cmp_neq_f64_e32 vcc_lo, 0, v[1:2]
	v_cmp_neq_f64_e64 s1, 0, v[3:4]
	s_or_b32 s1, vcc_lo, s1
	s_wait_alu 0xfffe
	s_and_not1_b32 vcc_lo, exec_lo, s1
	s_wait_alu 0xfffe
	s_cbranch_vccnz .LBB58_3
; %bb.5:                                ;   in Loop: Header=BB58_4 Depth=1
	s_and_saveexec_b32 s22, s0
	s_cbranch_execz .LBB58_2
; %bb.6:                                ;   in Loop: Header=BB58_4 Depth=1
	s_lshl_b64 s[24:25], s[2:3], 3
	s_mov_b32 s23, 0
	s_wait_alu 0xfffe
	s_add_nc_u64 s[26:27], s[16:17], s[24:25]
	s_load_b64 s[26:27], s[26:27], 0x0
	s_wait_kmcnt 0x0
	s_add_nc_u64 s[26:27], s[26:27], s[10:11]
	s_wait_alu 0xfffe
	s_add_nc_u64 s[26:27], s[26:27], s[18:19]
	s_wait_alu 0xfffe
	v_dual_mov_b32 v5, s26 :: v_dual_mov_b32 v6, s27
	s_add_nc_u64 s[26:27], s[14:15], s[24:25]
	s_add_nc_u64 s[24:25], s[12:13], s[24:25]
	s_load_b64 s[26:27], s[26:27], 0x0
	s_load_b64 s[24:25], s[24:25], 0x0
	flat_load_b128 v[5:8], v[5:6]
	s_wait_loadcnt_dscnt 0x0
	v_mul_f64_e32 v[14:15], v[3:4], v[7:8]
	v_mul_f64_e32 v[7:8], v[1:2], v[7:8]
	s_delay_alu instid0(VALU_DEP_2) | instskip(NEXT) | instid1(VALU_DEP_2)
	v_fma_f64 v[1:2], v[1:2], v[5:6], -v[14:15]
	v_fma_f64 v[3:4], v[3:4], v[5:6], v[7:8]
	s_wait_kmcnt 0x0
	v_add_co_u32 v5, vcc_lo, s26, v11
	s_wait_alu 0xfffd
	v_add_co_ci_u32_e64 v6, null, s27, v10, vcc_lo
	v_add_co_u32 v7, vcc_lo, s24, v13
	s_wait_alu 0xfffd
	v_add_co_ci_u32_e64 v8, null, s25, v12, vcc_lo
	v_mov_b32_e32 v14, v0
.LBB58_7:                               ;   Parent Loop BB58_4 Depth=1
                                        ; =>  This Inner Loop Header: Depth=2
	flat_load_b128 v[15:18], v[7:8] offset:-8
	flat_load_b128 v[19:22], v[5:6] offset:-8
	v_add_nc_u32_e32 v14, 0x400, v14
	v_add_co_u32 v7, vcc_lo, v7, s8
	s_wait_alu 0xfffd
	v_add_co_ci_u32_e64 v8, null, s9, v8, vcc_lo
	s_delay_alu instid0(VALU_DEP_3) | instskip(SKIP_4) | instid1(VALU_DEP_2)
	v_cmp_le_i32_e32 vcc_lo, s21, v14
	s_or_b32 s23, vcc_lo, s23
	s_wait_loadcnt_dscnt 0x101
	v_mul_f64_e32 v[23:24], v[3:4], v[17:18]
	v_mul_f64_e32 v[17:18], v[1:2], v[17:18]
	v_fma_f64 v[23:24], v[1:2], v[15:16], -v[23:24]
	s_delay_alu instid0(VALU_DEP_2) | instskip(SKIP_1) | instid1(VALU_DEP_2)
	v_fma_f64 v[17:18], v[3:4], v[15:16], v[17:18]
	s_wait_loadcnt_dscnt 0x0
	v_add_f64_e32 v[15:16], v[19:20], v[23:24]
	s_delay_alu instid0(VALU_DEP_2)
	v_add_f64_e32 v[17:18], v[17:18], v[21:22]
	flat_store_b128 v[5:6], v[15:18] offset:-8
	v_add_co_u32 v5, s1, 0x4000, v5
	s_wait_alu 0xf1ff
	v_add_co_ci_u32_e64 v6, null, 0, v6, s1
	s_wait_alu 0xfffe
	s_and_not1_b32 exec_lo, exec_lo, s23
	s_cbranch_execnz .LBB58_7
	s_branch .LBB58_2
.LBB58_8:
	s_endpgm
	.section	.rodata,"a",@progbits
	.p2align	6, 0x0
	.amdhsa_kernel _ZL19rocblas_sger_kernelILi1024E19rocblas_complex_numIdEPKS1_PKS3_PKPS1_EviiT1_lT2_lllSA_lllT3_lmli
		.amdhsa_group_segment_fixed_size 0
		.amdhsa_private_segment_fixed_size 0
		.amdhsa_kernarg_size 124
		.amdhsa_user_sgpr_count 2
		.amdhsa_user_sgpr_dispatch_ptr 0
		.amdhsa_user_sgpr_queue_ptr 0
		.amdhsa_user_sgpr_kernarg_segment_ptr 1
		.amdhsa_user_sgpr_dispatch_id 0
		.amdhsa_user_sgpr_private_segment_size 0
		.amdhsa_wavefront_size32 1
		.amdhsa_uses_dynamic_stack 0
		.amdhsa_enable_private_segment 0
		.amdhsa_system_sgpr_workgroup_id_x 1
		.amdhsa_system_sgpr_workgroup_id_y 0
		.amdhsa_system_sgpr_workgroup_id_z 1
		.amdhsa_system_sgpr_workgroup_info 0
		.amdhsa_system_vgpr_workitem_id 0
		.amdhsa_next_free_vgpr 25
		.amdhsa_next_free_sgpr 32
		.amdhsa_reserve_vcc 1
		.amdhsa_float_round_mode_32 0
		.amdhsa_float_round_mode_16_64 0
		.amdhsa_float_denorm_mode_32 3
		.amdhsa_float_denorm_mode_16_64 3
		.amdhsa_fp16_overflow 0
		.amdhsa_workgroup_processor_mode 1
		.amdhsa_memory_ordered 1
		.amdhsa_forward_progress 1
		.amdhsa_inst_pref_size 6
		.amdhsa_round_robin_scheduling 0
		.amdhsa_exception_fp_ieee_invalid_op 0
		.amdhsa_exception_fp_denorm_src 0
		.amdhsa_exception_fp_ieee_div_zero 0
		.amdhsa_exception_fp_ieee_overflow 0
		.amdhsa_exception_fp_ieee_underflow 0
		.amdhsa_exception_fp_ieee_inexact 0
		.amdhsa_exception_int_div_zero 0
	.end_amdhsa_kernel
	.section	.text._ZL19rocblas_sger_kernelILi1024E19rocblas_complex_numIdEPKS1_PKS3_PKPS1_EviiT1_lT2_lllSA_lllT3_lmli,"axG",@progbits,_ZL19rocblas_sger_kernelILi1024E19rocblas_complex_numIdEPKS1_PKS3_PKPS1_EviiT1_lT2_lllSA_lllT3_lmli,comdat
.Lfunc_end58:
	.size	_ZL19rocblas_sger_kernelILi1024E19rocblas_complex_numIdEPKS1_PKS3_PKPS1_EviiT1_lT2_lllSA_lllT3_lmli, .Lfunc_end58-_ZL19rocblas_sger_kernelILi1024E19rocblas_complex_numIdEPKS1_PKS3_PKPS1_EviiT1_lT2_lllSA_lllT3_lmli
                                        ; -- End function
	.set _ZL19rocblas_sger_kernelILi1024E19rocblas_complex_numIdEPKS1_PKS3_PKPS1_EviiT1_lT2_lllSA_lllT3_lmli.num_vgpr, 25
	.set _ZL19rocblas_sger_kernelILi1024E19rocblas_complex_numIdEPKS1_PKS3_PKPS1_EviiT1_lT2_lllSA_lllT3_lmli.num_agpr, 0
	.set _ZL19rocblas_sger_kernelILi1024E19rocblas_complex_numIdEPKS1_PKS3_PKPS1_EviiT1_lT2_lllSA_lllT3_lmli.numbered_sgpr, 32
	.set _ZL19rocblas_sger_kernelILi1024E19rocblas_complex_numIdEPKS1_PKS3_PKPS1_EviiT1_lT2_lllSA_lllT3_lmli.num_named_barrier, 0
	.set _ZL19rocblas_sger_kernelILi1024E19rocblas_complex_numIdEPKS1_PKS3_PKPS1_EviiT1_lT2_lllSA_lllT3_lmli.private_seg_size, 0
	.set _ZL19rocblas_sger_kernelILi1024E19rocblas_complex_numIdEPKS1_PKS3_PKPS1_EviiT1_lT2_lllSA_lllT3_lmli.uses_vcc, 1
	.set _ZL19rocblas_sger_kernelILi1024E19rocblas_complex_numIdEPKS1_PKS3_PKPS1_EviiT1_lT2_lllSA_lllT3_lmli.uses_flat_scratch, 0
	.set _ZL19rocblas_sger_kernelILi1024E19rocblas_complex_numIdEPKS1_PKS3_PKPS1_EviiT1_lT2_lllSA_lllT3_lmli.has_dyn_sized_stack, 0
	.set _ZL19rocblas_sger_kernelILi1024E19rocblas_complex_numIdEPKS1_PKS3_PKPS1_EviiT1_lT2_lllSA_lllT3_lmli.has_recursion, 0
	.set _ZL19rocblas_sger_kernelILi1024E19rocblas_complex_numIdEPKS1_PKS3_PKPS1_EviiT1_lT2_lllSA_lllT3_lmli.has_indirect_call, 0
	.section	.AMDGPU.csdata,"",@progbits
; Kernel info:
; codeLenInByte = 688
; TotalNumSgprs: 34
; NumVgprs: 25
; ScratchSize: 0
; MemoryBound: 0
; FloatMode: 240
; IeeeMode: 1
; LDSByteSize: 0 bytes/workgroup (compile time only)
; SGPRBlocks: 0
; VGPRBlocks: 3
; NumSGPRsForWavesPerEU: 34
; NumVGPRsForWavesPerEU: 25
; Occupancy: 16
; WaveLimiterHint : 1
; COMPUTE_PGM_RSRC2:SCRATCH_EN: 0
; COMPUTE_PGM_RSRC2:USER_SGPR: 2
; COMPUTE_PGM_RSRC2:TRAP_HANDLER: 0
; COMPUTE_PGM_RSRC2:TGID_X_EN: 1
; COMPUTE_PGM_RSRC2:TGID_Y_EN: 0
; COMPUTE_PGM_RSRC2:TGID_Z_EN: 1
; COMPUTE_PGM_RSRC2:TIDIG_COMP_CNT: 0
	.section	.text._ZL19rocblas_sger_kernelILi1024E19rocblas_complex_numIdES1_PKPKS1_PKPS1_EviiT1_lT2_lllSA_lllT3_lmli,"axG",@progbits,_ZL19rocblas_sger_kernelILi1024E19rocblas_complex_numIdES1_PKPKS1_PKPS1_EviiT1_lT2_lllSA_lllT3_lmli,comdat
	.globl	_ZL19rocblas_sger_kernelILi1024E19rocblas_complex_numIdES1_PKPKS1_PKPS1_EviiT1_lT2_lllSA_lllT3_lmli ; -- Begin function _ZL19rocblas_sger_kernelILi1024E19rocblas_complex_numIdES1_PKPKS1_PKPS1_EviiT1_lT2_lllSA_lllT3_lmli
	.p2align	8
	.type	_ZL19rocblas_sger_kernelILi1024E19rocblas_complex_numIdES1_PKPKS1_PKPS1_EviiT1_lT2_lllSA_lllT3_lmli,@function
_ZL19rocblas_sger_kernelILi1024E19rocblas_complex_numIdES1_PKPKS1_PKPS1_EviiT1_lT2_lllSA_lllT3_lmli: ; @_ZL19rocblas_sger_kernelILi1024E19rocblas_complex_numIdES1_PKPKS1_PKPS1_EviiT1_lT2_lllSA_lllT3_lmli
; %bb.0:
	s_load_b32 s20, s[0:1], 0x80
	s_lshr_b32 s2, ttmp7, 16
	s_wait_kmcnt 0x0
	s_cmp_ge_u32 s2, s20
	s_cbranch_scc1 .LBB59_8
; %bb.1:
	s_clause 0x7
	s_load_b128 s[4:7], s[0:1], 0x8
	s_load_b128 s[8:11], s[0:1], 0x28
	s_load_b32 s21, s[0:1], 0x0
	s_load_b128 s[24:27], s[0:1], 0x68
	s_load_b128 s[28:31], s[0:1], 0x48
	s_load_b64 s[12:13], s[0:1], 0x20
	s_load_b64 s[14:15], s[0:1], 0x60
	;; [unrolled: 1-line block ×3, first 2 shown]
	s_mov_b32 s18, ttmp9
	s_ashr_i32 s19, ttmp9, 31
	s_mov_b32 s3, 0
	s_wait_kmcnt 0x0
	v_cmp_neq_f64_e64 s33, s[4:5], 0
	v_cmp_neq_f64_e64 s34, s[6:7], 0
	v_mad_co_u64_u32 v[1:2], null, s10, v0, 0
	v_cmp_gt_i32_e64 s0, s21, v0
	s_mul_u64 s[22:23], s[26:27], s[18:19]
	s_lshl_b64 s[24:25], s[24:25], 4
	s_lshl_b64 s[22:23], s[22:23], 4
	;; [unrolled: 1-line block ×3, first 2 shown]
	s_add_nc_u64 s[22:23], s[22:23], s[24:25]
	v_mad_co_u64_u32 v[2:3], null, s11, v0, v[2:3]
	v_cndmask_b32_e64 v3, 0, v0, s0
	s_mul_u64 s[18:19], s[30:31], s[18:19]
	s_delay_alu instid0(SALU_CYCLE_1) | instskip(NEXT) | instid1(VALU_DEP_1)
	s_lshl_b64 s[18:19], s[18:19], 4
	v_lshlrev_b32_e32 v3, 4, v3
	s_delay_alu instid0(VALU_DEP_3) | instskip(NEXT) | instid1(VALU_DEP_2)
	v_lshlrev_b64_e32 v[1:2], 4, v[1:2]
	v_add_co_u32 v3, s1, s22, v3
	s_delay_alu instid0(VALU_DEP_2) | instskip(SKIP_2) | instid1(VALU_DEP_3)
	v_add_co_u32 v1, vcc_lo, v1, s8
	s_wait_alu 0xf1ff
	v_add_co_ci_u32_e64 v9, null, s23, 0, s1
	v_or_b32_e32 v10, 8, v3
	v_add_co_ci_u32_e64 v11, null, s9, v2, vcc_lo
	v_or_b32_e32 v12, 8, v1
	s_lshl_b64 s[8:9], s[10:11], 14
	s_lshl_b64 s[10:11], s[28:29], 4
	s_or_b32 s22, s33, s34
	s_branch .LBB59_4
.LBB59_2:                               ;   in Loop: Header=BB59_4 Depth=1
	s_wait_alu 0xfffe
	s_or_b32 exec_lo, exec_lo, s23
.LBB59_3:                               ;   in Loop: Header=BB59_4 Depth=1
	s_add_co_i32 s2, s2, 0x10000
	s_delay_alu instid0(SALU_CYCLE_1)
	s_cmp_lt_u32 s2, s20
	s_cbranch_scc0 .LBB59_8
.LBB59_4:                               ; =>This Loop Header: Depth=1
                                        ;     Child Loop BB59_7 Depth 2
	s_wait_alu 0xfffe
	s_and_not1_b32 vcc_lo, exec_lo, s22
	s_wait_alu 0xfffe
	s_cbranch_vccnz .LBB59_3
; %bb.5:                                ;   in Loop: Header=BB59_4 Depth=1
	s_and_saveexec_b32 s23, s0
	s_cbranch_execz .LBB59_2
; %bb.6:                                ;   in Loop: Header=BB59_4 Depth=1
	s_lshl_b64 s[24:25], s[2:3], 3
	v_mov_b32_e32 v13, v0
	s_wait_alu 0xfffe
	s_add_nc_u64 s[26:27], s[16:17], s[24:25]
	s_load_b64 s[26:27], s[26:27], 0x0
	s_wait_kmcnt 0x0
	s_add_nc_u64 s[26:27], s[26:27], s[10:11]
	s_wait_alu 0xfffe
	s_add_nc_u64 s[26:27], s[26:27], s[18:19]
	s_wait_alu 0xfffe
	v_dual_mov_b32 v1, s26 :: v_dual_mov_b32 v2, s27
	s_add_nc_u64 s[26:27], s[14:15], s[24:25]
	s_add_nc_u64 s[24:25], s[12:13], s[24:25]
	s_load_b64 s[26:27], s[26:27], 0x0
	s_load_b64 s[24:25], s[24:25], 0x0
	flat_load_b128 v[3:6], v[1:2]
	s_wait_loadcnt_dscnt 0x0
	v_mul_f64_e32 v[1:2], s[6:7], v[5:6]
	v_mul_f64_e32 v[5:6], s[4:5], v[5:6]
	s_delay_alu instid0(VALU_DEP_2) | instskip(NEXT) | instid1(VALU_DEP_2)
	v_fma_f64 v[1:2], s[4:5], v[3:4], -v[1:2]
	v_fma_f64 v[3:4], s[6:7], v[3:4], v[5:6]
	s_wait_kmcnt 0x0
	v_add_co_u32 v5, vcc_lo, s26, v10
	s_wait_alu 0xfffd
	v_add_co_ci_u32_e64 v6, null, s27, v9, vcc_lo
	v_add_co_u32 v7, vcc_lo, s24, v12
	s_wait_alu 0xfffd
	v_add_co_ci_u32_e64 v8, null, s25, v11, vcc_lo
	s_mov_b32 s24, 0
.LBB59_7:                               ;   Parent Loop BB59_4 Depth=1
                                        ; =>  This Inner Loop Header: Depth=2
	flat_load_b128 v[14:17], v[7:8] offset:-8
	flat_load_b128 v[18:21], v[5:6] offset:-8
	v_add_nc_u32_e32 v13, 0x400, v13
	v_add_co_u32 v7, vcc_lo, v7, s8
	s_wait_alu 0xfffd
	v_add_co_ci_u32_e64 v8, null, s9, v8, vcc_lo
	s_delay_alu instid0(VALU_DEP_3)
	v_cmp_le_i32_e32 vcc_lo, s21, v13
	s_wait_alu 0xfffe
	s_or_b32 s24, vcc_lo, s24
	s_wait_loadcnt_dscnt 0x101
	v_mul_f64_e32 v[22:23], v[3:4], v[16:17]
	v_mul_f64_e32 v[16:17], v[1:2], v[16:17]
	s_delay_alu instid0(VALU_DEP_2) | instskip(NEXT) | instid1(VALU_DEP_2)
	v_fma_f64 v[22:23], v[1:2], v[14:15], -v[22:23]
	v_fma_f64 v[16:17], v[3:4], v[14:15], v[16:17]
	s_wait_loadcnt_dscnt 0x0
	s_delay_alu instid0(VALU_DEP_2) | instskip(NEXT) | instid1(VALU_DEP_2)
	v_add_f64_e32 v[14:15], v[18:19], v[22:23]
	v_add_f64_e32 v[16:17], v[16:17], v[20:21]
	flat_store_b128 v[5:6], v[14:17] offset:-8
	v_add_co_u32 v5, s1, 0x4000, v5
	s_wait_alu 0xf1ff
	v_add_co_ci_u32_e64 v6, null, 0, v6, s1
	s_wait_alu 0xfffe
	s_and_not1_b32 exec_lo, exec_lo, s24
	s_cbranch_execnz .LBB59_7
	s_branch .LBB59_2
.LBB59_8:
	s_endpgm
	.section	.rodata,"a",@progbits
	.p2align	6, 0x0
	.amdhsa_kernel _ZL19rocblas_sger_kernelILi1024E19rocblas_complex_numIdES1_PKPKS1_PKPS1_EviiT1_lT2_lllSA_lllT3_lmli
		.amdhsa_group_segment_fixed_size 0
		.amdhsa_private_segment_fixed_size 0
		.amdhsa_kernarg_size 132
		.amdhsa_user_sgpr_count 2
		.amdhsa_user_sgpr_dispatch_ptr 0
		.amdhsa_user_sgpr_queue_ptr 0
		.amdhsa_user_sgpr_kernarg_segment_ptr 1
		.amdhsa_user_sgpr_dispatch_id 0
		.amdhsa_user_sgpr_private_segment_size 0
		.amdhsa_wavefront_size32 1
		.amdhsa_uses_dynamic_stack 0
		.amdhsa_enable_private_segment 0
		.amdhsa_system_sgpr_workgroup_id_x 1
		.amdhsa_system_sgpr_workgroup_id_y 0
		.amdhsa_system_sgpr_workgroup_id_z 1
		.amdhsa_system_sgpr_workgroup_info 0
		.amdhsa_system_vgpr_workitem_id 0
		.amdhsa_next_free_vgpr 24
		.amdhsa_next_free_sgpr 35
		.amdhsa_reserve_vcc 1
		.amdhsa_float_round_mode_32 0
		.amdhsa_float_round_mode_16_64 0
		.amdhsa_float_denorm_mode_32 3
		.amdhsa_float_denorm_mode_16_64 3
		.amdhsa_fp16_overflow 0
		.amdhsa_workgroup_processor_mode 1
		.amdhsa_memory_ordered 1
		.amdhsa_forward_progress 1
		.amdhsa_inst_pref_size 6
		.amdhsa_round_robin_scheduling 0
		.amdhsa_exception_fp_ieee_invalid_op 0
		.amdhsa_exception_fp_denorm_src 0
		.amdhsa_exception_fp_ieee_div_zero 0
		.amdhsa_exception_fp_ieee_overflow 0
		.amdhsa_exception_fp_ieee_underflow 0
		.amdhsa_exception_fp_ieee_inexact 0
		.amdhsa_exception_int_div_zero 0
	.end_amdhsa_kernel
	.section	.text._ZL19rocblas_sger_kernelILi1024E19rocblas_complex_numIdES1_PKPKS1_PKPS1_EviiT1_lT2_lllSA_lllT3_lmli,"axG",@progbits,_ZL19rocblas_sger_kernelILi1024E19rocblas_complex_numIdES1_PKPKS1_PKPS1_EviiT1_lT2_lllSA_lllT3_lmli,comdat
.Lfunc_end59:
	.size	_ZL19rocblas_sger_kernelILi1024E19rocblas_complex_numIdES1_PKPKS1_PKPS1_EviiT1_lT2_lllSA_lllT3_lmli, .Lfunc_end59-_ZL19rocblas_sger_kernelILi1024E19rocblas_complex_numIdES1_PKPKS1_PKPS1_EviiT1_lT2_lllSA_lllT3_lmli
                                        ; -- End function
	.set _ZL19rocblas_sger_kernelILi1024E19rocblas_complex_numIdES1_PKPKS1_PKPS1_EviiT1_lT2_lllSA_lllT3_lmli.num_vgpr, 24
	.set _ZL19rocblas_sger_kernelILi1024E19rocblas_complex_numIdES1_PKPKS1_PKPS1_EviiT1_lT2_lllSA_lllT3_lmli.num_agpr, 0
	.set _ZL19rocblas_sger_kernelILi1024E19rocblas_complex_numIdES1_PKPKS1_PKPS1_EviiT1_lT2_lllSA_lllT3_lmli.numbered_sgpr, 35
	.set _ZL19rocblas_sger_kernelILi1024E19rocblas_complex_numIdES1_PKPKS1_PKPS1_EviiT1_lT2_lllSA_lllT3_lmli.num_named_barrier, 0
	.set _ZL19rocblas_sger_kernelILi1024E19rocblas_complex_numIdES1_PKPKS1_PKPS1_EviiT1_lT2_lllSA_lllT3_lmli.private_seg_size, 0
	.set _ZL19rocblas_sger_kernelILi1024E19rocblas_complex_numIdES1_PKPKS1_PKPS1_EviiT1_lT2_lllSA_lllT3_lmli.uses_vcc, 1
	.set _ZL19rocblas_sger_kernelILi1024E19rocblas_complex_numIdES1_PKPKS1_PKPS1_EviiT1_lT2_lllSA_lllT3_lmli.uses_flat_scratch, 0
	.set _ZL19rocblas_sger_kernelILi1024E19rocblas_complex_numIdES1_PKPKS1_PKPS1_EviiT1_lT2_lllSA_lllT3_lmli.has_dyn_sized_stack, 0
	.set _ZL19rocblas_sger_kernelILi1024E19rocblas_complex_numIdES1_PKPKS1_PKPS1_EviiT1_lT2_lllSA_lllT3_lmli.has_recursion, 0
	.set _ZL19rocblas_sger_kernelILi1024E19rocblas_complex_numIdES1_PKPKS1_PKPS1_EviiT1_lT2_lllSA_lllT3_lmli.has_indirect_call, 0
	.section	.AMDGPU.csdata,"",@progbits
; Kernel info:
; codeLenInByte = 656
; TotalNumSgprs: 37
; NumVgprs: 24
; ScratchSize: 0
; MemoryBound: 0
; FloatMode: 240
; IeeeMode: 1
; LDSByteSize: 0 bytes/workgroup (compile time only)
; SGPRBlocks: 0
; VGPRBlocks: 2
; NumSGPRsForWavesPerEU: 37
; NumVGPRsForWavesPerEU: 24
; Occupancy: 16
; WaveLimiterHint : 1
; COMPUTE_PGM_RSRC2:SCRATCH_EN: 0
; COMPUTE_PGM_RSRC2:USER_SGPR: 2
; COMPUTE_PGM_RSRC2:TRAP_HANDLER: 0
; COMPUTE_PGM_RSRC2:TGID_X_EN: 1
; COMPUTE_PGM_RSRC2:TGID_Y_EN: 0
; COMPUTE_PGM_RSRC2:TGID_Z_EN: 1
; COMPUTE_PGM_RSRC2:TIDIG_COMP_CNT: 0
	.section	.text._ZL18rocblas_ger_kernelILi32ELi32ELi2ELb0E19rocblas_complex_numIdEPKS1_PKS3_PKPS1_EviiT4_lT5_lllSA_lllT6_lmli,"axG",@progbits,_ZL18rocblas_ger_kernelILi32ELi32ELi2ELb0E19rocblas_complex_numIdEPKS1_PKS3_PKPS1_EviiT4_lT5_lllSA_lllT6_lmli,comdat
	.globl	_ZL18rocblas_ger_kernelILi32ELi32ELi2ELb0E19rocblas_complex_numIdEPKS1_PKS3_PKPS1_EviiT4_lT5_lllSA_lllT6_lmli ; -- Begin function _ZL18rocblas_ger_kernelILi32ELi32ELi2ELb0E19rocblas_complex_numIdEPKS1_PKS3_PKPS1_EviiT4_lT5_lllSA_lllT6_lmli
	.p2align	8
	.type	_ZL18rocblas_ger_kernelILi32ELi32ELi2ELb0E19rocblas_complex_numIdEPKS1_PKS3_PKPS1_EviiT4_lT5_lllSA_lllT6_lmli,@function
_ZL18rocblas_ger_kernelILi32ELi32ELi2ELb0E19rocblas_complex_numIdEPKS1_PKS3_PKPS1_EviiT4_lT5_lllSA_lllT6_lmli: ; @_ZL18rocblas_ger_kernelILi32ELi32ELi2ELb0E19rocblas_complex_numIdEPKS1_PKS3_PKPS1_EviiT4_lT5_lllSA_lllT6_lmli
; %bb.0:
	s_load_b32 s33, s[0:1], 0x78
	s_lshr_b32 s24, ttmp7, 16
	s_wait_kmcnt 0x0
	s_cmp_ge_u32 s24, s33
	s_cbranch_scc1 .LBB60_18
; %bb.1:
	s_clause 0x7
	s_load_b64 s[4:5], s[0:1], 0x0
	s_load_b128 s[8:11], s[0:1], 0x8
	s_load_b64 s[26:27], s[0:1], 0x18
	s_load_b128 s[12:15], s[0:1], 0x20
	;; [unrolled: 2-line block ×4, first 2 shown]
	s_mov_b32 s25, 0
	s_wait_kmcnt 0x0
	s_add_co_i32 s2, s4, -1
	s_delay_alu instid0(SALU_CYCLE_1) | instskip(NEXT) | instid1(SALU_CYCLE_1)
	s_ashr_i32 s3, s2, 31
	s_lshr_b32 s3, s3, 27
	s_delay_alu instid0(SALU_CYCLE_1) | instskip(NEXT) | instid1(SALU_CYCLE_1)
	s_add_co_i32 s2, s2, s3
	s_ashr_i32 s2, s2, 5
	s_delay_alu instid0(SALU_CYCLE_1) | instskip(SKIP_2) | instid1(SALU_CYCLE_3)
	s_add_co_i32 s3, s2, 1
	s_not_b32 s2, s2
	s_cvt_f32_u32 s6, s3
	v_rcp_iflag_f32_e32 v1, s6
	s_delay_alu instid0(TRANS32_DEP_1) | instskip(SKIP_3) | instid1(VALU_DEP_2)
	v_readfirstlane_b32 s6, v1
	v_bfe_u32 v1, v0, 10, 10
	v_and_b32_e32 v0, 0x3ff, v0
	s_mul_f32 s6, s6, 0x4f7ffffe
	v_lshlrev_b32_e32 v2, 1, v1
	s_delay_alu instid0(VALU_DEP_2) | instskip(SKIP_3) | instid1(VALU_DEP_2)
	v_lshlrev_b32_e32 v3, 4, v0
	v_lshlrev_b32_e32 v18, 5, v1
	s_wait_alu 0xfffe
	s_cvt_u32_f32 s6, s6
	v_add_nc_u32_e32 v19, 0x400, v3
	s_wait_alu 0xfffe
	s_delay_alu instid0(SALU_CYCLE_1) | instskip(SKIP_2) | instid1(SALU_CYCLE_1)
	s_mul_i32 s2, s2, s6
	v_add_nc_u32_e32 v20, v18, v3
	s_mul_hi_u32 s0, s6, s2
	s_add_co_i32 s6, s6, s0
	v_cmp_eq_u32_e64 s0, 0, v1
	s_wait_alu 0xfffe
	s_mul_hi_u32 s1, ttmp9, s6
	s_delay_alu instid0(SALU_CYCLE_1) | instskip(SKIP_2) | instid1(SALU_CYCLE_1)
	s_mul_i32 s2, s1, s3
	s_add_co_i32 s6, s1, 1
	s_sub_co_i32 s2, ttmp9, s2
	s_sub_co_i32 s7, s2, s3
	s_cmp_ge_u32 s2, s3
	s_wait_alu 0xfffe
	s_cselect_b32 s1, s6, s1
	s_cselect_b32 s2, s7, s2
	s_add_co_i32 s6, s1, 1
	s_cmp_ge_u32 s2, s3
	s_wait_alu 0xfffe
	s_cselect_b32 s2, s6, s1
	s_lshl_b64 s[12:13], s[12:13], 4
	v_lshl_add_u32 v10, s2, 6, v2
	s_mul_i32 s2, s2, s3
	s_wait_alu 0xfffe
	s_sub_co_i32 s2, ttmp9, s2
	s_delay_alu instid0(VALU_DEP_1) | instskip(SKIP_3) | instid1(VALU_DEP_4)
	v_or_b32_e32 v11, v10, v0
	v_mad_co_u64_u32 v[4:5], null, s22, v10, 0
	v_ashrrev_i32_e32 v8, 31, v10
	v_or_b32_e32 v13, 1, v10
	v_mad_co_u64_u32 v[2:3], null, s18, v11, 0
	v_mul_lo_u32 v12, s23, v10
	s_delay_alu instid0(VALU_DEP_4) | instskip(NEXT) | instid1(VALU_DEP_4)
	v_mul_lo_u32 v15, s22, v8
	v_mul_lo_u32 v21, s23, v13
	v_mad_co_u64_u32 v[16:17], null, s22, v13, 0
	v_mad_co_u64_u32 v[8:9], null, s19, v11, v[3:4]
	s_delay_alu instid0(VALU_DEP_4) | instskip(NEXT) | instid1(VALU_DEP_3)
	v_add3_u32 v5, v5, v15, v12
	v_add3_u32 v17, v17, v15, v21
	v_mov_b32_e32 v21, 0
	s_delay_alu instid0(VALU_DEP_4)
	v_mov_b32_e32 v3, v8
	v_cmp_gt_u32_e64 s1, 2, v0
	s_wait_alu 0xfffe
	v_lshl_add_u32 v0, s2, 5, v0
	v_cmp_gt_i32_e64 s2, s5, v10
	v_lshlrev_b64_e32 v[16:17], 4, v[16:17]
	s_delay_alu instid0(VALU_DEP_3) | instskip(SKIP_3) | instid1(VALU_DEP_4)
	v_ashrrev_i32_e32 v1, 31, v0
	v_mul_lo_u32 v14, s15, v0
	v_mad_co_u64_u32 v[6:7], null, s14, v0, 0
	v_cmp_gt_i32_e64 s3, s4, v0
	v_mul_lo_u32 v22, s14, v1
	v_cmp_gt_u32_e64 s4, s5, v11
	v_cmp_gt_i32_e64 s5, s5, v13
	v_lshlrev_b64_e32 v[8:9], 4, v[0:1]
	v_lshlrev_b64_e32 v[10:11], 4, v[4:5]
	s_lshl_b64 s[14:15], s[16:17], 4
	s_lshl_b64 s[16:17], s[20:21], 4
	v_add3_u32 v7, v7, v22, v14
	v_lshlrev_b64_e32 v[14:15], 4, v[2:3]
	s_delay_alu instid0(VALU_DEP_2)
	v_lshlrev_b64_e32 v[12:13], 4, v[6:7]
	s_branch .LBB60_4
.LBB60_2:                               ;   in Loop: Header=BB60_4 Depth=1
	s_wait_alu 0xfffe
	s_or_b32 exec_lo, exec_lo, s18
.LBB60_3:                               ;   in Loop: Header=BB60_4 Depth=1
	s_add_co_i32 s24, s24, 0x10000
	s_delay_alu instid0(SALU_CYCLE_1)
	s_cmp_lt_u32 s24, s33
	s_cbranch_scc0 .LBB60_18
.LBB60_4:                               ; =>This Inner Loop Header: Depth=1
	s_mul_u64 s[6:7], s[10:11], s[24:25]
	s_wait_alu 0xfffe
	s_lshl_b64 s[6:7], s[6:7], 4
	s_wait_alu 0xfffe
	s_add_nc_u64 s[6:7], s[8:9], s[6:7]
	global_load_b128 v[0:3], v21, s[6:7]
	s_wait_loadcnt 0x0
	v_cmp_neq_f64_e32 vcc_lo, 0, v[0:1]
	v_cmp_neq_f64_e64 s6, 0, v[2:3]
	s_wait_alu 0xfffe
	s_or_b32 s6, vcc_lo, s6
	s_wait_alu 0xfffe
	s_and_not1_b32 vcc_lo, exec_lo, s6
	s_wait_alu 0xfffe
	s_cbranch_vccnz .LBB60_3
; %bb.5:                                ;   in Loop: Header=BB60_4 Depth=1
	s_lshl_b64 s[20:21], s[24:25], 3
	s_wait_alu 0xfffe
	s_add_nc_u64 s[6:7], s[28:29], s[20:21]
	s_add_nc_u64 s[22:23], s[30:31], s[20:21]
	s_load_b64 s[18:19], s[6:7], 0x0
	s_load_b64 s[6:7], s[22:23], 0x0
	s_and_saveexec_b32 s22, s0
	s_cbranch_execz .LBB60_9
; %bb.6:                                ;   in Loop: Header=BB60_4 Depth=1
	v_mov_b32_e32 v4, 0
	v_dual_mov_b32 v5, 0 :: v_dual_mov_b32 v6, 0
	v_mov_b32_e32 v7, 0
	s_and_saveexec_b32 s23, s3
	s_cbranch_execz .LBB60_8
; %bb.7:                                ;   in Loop: Header=BB60_4 Depth=1
	s_add_nc_u64 s[20:21], s[26:27], s[20:21]
	s_load_b64 s[20:21], s[20:21], 0x0
	s_wait_kmcnt 0x0
	s_add_nc_u64 s[20:21], s[20:21], s[12:13]
	s_wait_alu 0xfffe
	v_add_co_u32 v4, vcc_lo, s20, v12
	s_wait_alu 0xfffd
	v_add_co_ci_u32_e64 v5, null, s21, v13, vcc_lo
	flat_load_b128 v[4:7], v[4:5]
.LBB60_8:                               ;   in Loop: Header=BB60_4 Depth=1
	s_wait_alu 0xfffe
	s_or_b32 exec_lo, exec_lo, s23
	s_wait_loadcnt_dscnt 0x0
	ds_store_b128 v19, v[4:7]
.LBB60_9:                               ;   in Loop: Header=BB60_4 Depth=1
	s_wait_alu 0xfffe
	s_or_b32 exec_lo, exec_lo, s22
	s_and_saveexec_b32 s20, s1
	s_cbranch_execz .LBB60_13
; %bb.10:                               ;   in Loop: Header=BB60_4 Depth=1
	v_mov_b32_e32 v4, 0
	v_dual_mov_b32 v5, 0 :: v_dual_mov_b32 v6, 0
	v_mov_b32_e32 v7, 0
	s_and_saveexec_b32 s21, s4
	s_cbranch_execz .LBB60_12
; %bb.11:                               ;   in Loop: Header=BB60_4 Depth=1
	s_wait_kmcnt 0x0
	s_add_nc_u64 s[18:19], s[18:19], s[14:15]
	s_wait_alu 0xfffe
	v_add_co_u32 v4, vcc_lo, s18, v14
	s_wait_alu 0xfffd
	v_add_co_ci_u32_e64 v5, null, s19, v15, vcc_lo
	flat_load_b128 v[4:7], v[4:5]
.LBB60_12:                              ;   in Loop: Header=BB60_4 Depth=1
	s_wait_alu 0xfffe
	s_or_b32 exec_lo, exec_lo, s21
	s_wait_loadcnt_dscnt 0x0
	ds_store_b128 v20, v[4:7]
.LBB60_13:                              ;   in Loop: Header=BB60_4 Depth=1
	s_wait_alu 0xfffe
	s_or_b32 exec_lo, exec_lo, s20
	s_wait_dscnt 0x0
	s_barrier_signal -1
	s_barrier_wait -1
	global_inv scope:SCOPE_SE
	s_wait_kmcnt 0x0
	s_and_saveexec_b32 s18, s3
	s_cbranch_execz .LBB60_2
; %bb.14:                               ;   in Loop: Header=BB60_4 Depth=1
	ds_load_b128 v[4:7], v19
	s_add_nc_u64 s[6:7], s[6:7], s[16:17]
	s_wait_dscnt 0x0
	v_mul_f64_e32 v[22:23], v[2:3], v[6:7]
	v_mul_f64_e32 v[6:7], v[0:1], v[6:7]
	s_delay_alu instid0(VALU_DEP_2) | instskip(NEXT) | instid1(VALU_DEP_2)
	v_fma_f64 v[0:1], v[0:1], v[4:5], -v[22:23]
	v_fma_f64 v[2:3], v[2:3], v[4:5], v[6:7]
	s_wait_alu 0xfffe
	v_add_co_u32 v4, vcc_lo, s6, v8
	s_wait_alu 0xfffd
	v_add_co_ci_u32_e64 v5, null, s7, v9, vcc_lo
	s_and_saveexec_b32 s6, s2
	s_cbranch_execz .LBB60_16
; %bb.15:                               ;   in Loop: Header=BB60_4 Depth=1
	v_add_co_u32 v6, vcc_lo, v4, v10
	s_wait_alu 0xfffd
	v_add_co_ci_u32_e64 v7, null, v5, v11, vcc_lo
	ds_load_b128 v[26:29], v18
	flat_load_b128 v[22:25], v[6:7]
	s_wait_dscnt 0x1
	v_mul_f64_e32 v[30:31], v[2:3], v[28:29]
	v_mul_f64_e32 v[28:29], v[0:1], v[28:29]
	s_delay_alu instid0(VALU_DEP_2) | instskip(NEXT) | instid1(VALU_DEP_2)
	v_fma_f64 v[30:31], v[0:1], v[26:27], -v[30:31]
	v_fma_f64 v[26:27], v[2:3], v[26:27], v[28:29]
	s_wait_loadcnt_dscnt 0x0
	s_delay_alu instid0(VALU_DEP_2) | instskip(NEXT) | instid1(VALU_DEP_2)
	v_add_f64_e32 v[22:23], v[22:23], v[30:31]
	v_add_f64_e32 v[24:25], v[26:27], v[24:25]
	flat_store_b128 v[6:7], v[22:25]
.LBB60_16:                              ;   in Loop: Header=BB60_4 Depth=1
	s_wait_alu 0xfffe
	s_or_b32 exec_lo, exec_lo, s6
	s_delay_alu instid0(SALU_CYCLE_1)
	s_and_b32 exec_lo, exec_lo, s5
	s_cbranch_execz .LBB60_2
; %bb.17:                               ;   in Loop: Header=BB60_4 Depth=1
	v_add_co_u32 v26, vcc_lo, v4, v16
	s_wait_alu 0xfffd
	v_add_co_ci_u32_e64 v27, null, v5, v17, vcc_lo
	ds_load_b128 v[22:25], v18 offset:16
	flat_load_b128 v[4:7], v[26:27]
	s_wait_dscnt 0x1
	v_mul_f64_e32 v[28:29], v[2:3], v[24:25]
	v_mul_f64_e32 v[24:25], v[0:1], v[24:25]
	s_delay_alu instid0(VALU_DEP_2) | instskip(NEXT) | instid1(VALU_DEP_2)
	v_fma_f64 v[0:1], v[0:1], v[22:23], -v[28:29]
	v_fma_f64 v[2:3], v[2:3], v[22:23], v[24:25]
	s_wait_loadcnt_dscnt 0x0
	s_delay_alu instid0(VALU_DEP_2) | instskip(NEXT) | instid1(VALU_DEP_2)
	v_add_f64_e32 v[0:1], v[4:5], v[0:1]
	v_add_f64_e32 v[2:3], v[2:3], v[6:7]
	flat_store_b128 v[26:27], v[0:3]
	s_branch .LBB60_2
.LBB60_18:
	s_endpgm
	.section	.rodata,"a",@progbits
	.p2align	6, 0x0
	.amdhsa_kernel _ZL18rocblas_ger_kernelILi32ELi32ELi2ELb0E19rocblas_complex_numIdEPKS1_PKS3_PKPS1_EviiT4_lT5_lllSA_lllT6_lmli
		.amdhsa_group_segment_fixed_size 1536
		.amdhsa_private_segment_fixed_size 0
		.amdhsa_kernarg_size 124
		.amdhsa_user_sgpr_count 2
		.amdhsa_user_sgpr_dispatch_ptr 0
		.amdhsa_user_sgpr_queue_ptr 0
		.amdhsa_user_sgpr_kernarg_segment_ptr 1
		.amdhsa_user_sgpr_dispatch_id 0
		.amdhsa_user_sgpr_private_segment_size 0
		.amdhsa_wavefront_size32 1
		.amdhsa_uses_dynamic_stack 0
		.amdhsa_enable_private_segment 0
		.amdhsa_system_sgpr_workgroup_id_x 1
		.amdhsa_system_sgpr_workgroup_id_y 0
		.amdhsa_system_sgpr_workgroup_id_z 1
		.amdhsa_system_sgpr_workgroup_info 0
		.amdhsa_system_vgpr_workitem_id 1
		.amdhsa_next_free_vgpr 32
		.amdhsa_next_free_sgpr 34
		.amdhsa_reserve_vcc 1
		.amdhsa_float_round_mode_32 0
		.amdhsa_float_round_mode_16_64 0
		.amdhsa_float_denorm_mode_32 3
		.amdhsa_float_denorm_mode_16_64 3
		.amdhsa_fp16_overflow 0
		.amdhsa_workgroup_processor_mode 1
		.amdhsa_memory_ordered 1
		.amdhsa_forward_progress 1
		.amdhsa_inst_pref_size 10
		.amdhsa_round_robin_scheduling 0
		.amdhsa_exception_fp_ieee_invalid_op 0
		.amdhsa_exception_fp_denorm_src 0
		.amdhsa_exception_fp_ieee_div_zero 0
		.amdhsa_exception_fp_ieee_overflow 0
		.amdhsa_exception_fp_ieee_underflow 0
		.amdhsa_exception_fp_ieee_inexact 0
		.amdhsa_exception_int_div_zero 0
	.end_amdhsa_kernel
	.section	.text._ZL18rocblas_ger_kernelILi32ELi32ELi2ELb0E19rocblas_complex_numIdEPKS1_PKS3_PKPS1_EviiT4_lT5_lllSA_lllT6_lmli,"axG",@progbits,_ZL18rocblas_ger_kernelILi32ELi32ELi2ELb0E19rocblas_complex_numIdEPKS1_PKS3_PKPS1_EviiT4_lT5_lllSA_lllT6_lmli,comdat
.Lfunc_end60:
	.size	_ZL18rocblas_ger_kernelILi32ELi32ELi2ELb0E19rocblas_complex_numIdEPKS1_PKS3_PKPS1_EviiT4_lT5_lllSA_lllT6_lmli, .Lfunc_end60-_ZL18rocblas_ger_kernelILi32ELi32ELi2ELb0E19rocblas_complex_numIdEPKS1_PKS3_PKPS1_EviiT4_lT5_lllSA_lllT6_lmli
                                        ; -- End function
	.set _ZL18rocblas_ger_kernelILi32ELi32ELi2ELb0E19rocblas_complex_numIdEPKS1_PKS3_PKPS1_EviiT4_lT5_lllSA_lllT6_lmli.num_vgpr, 32
	.set _ZL18rocblas_ger_kernelILi32ELi32ELi2ELb0E19rocblas_complex_numIdEPKS1_PKS3_PKPS1_EviiT4_lT5_lllSA_lllT6_lmli.num_agpr, 0
	.set _ZL18rocblas_ger_kernelILi32ELi32ELi2ELb0E19rocblas_complex_numIdEPKS1_PKS3_PKPS1_EviiT4_lT5_lllSA_lllT6_lmli.numbered_sgpr, 34
	.set _ZL18rocblas_ger_kernelILi32ELi32ELi2ELb0E19rocblas_complex_numIdEPKS1_PKS3_PKPS1_EviiT4_lT5_lllSA_lllT6_lmli.num_named_barrier, 0
	.set _ZL18rocblas_ger_kernelILi32ELi32ELi2ELb0E19rocblas_complex_numIdEPKS1_PKS3_PKPS1_EviiT4_lT5_lllSA_lllT6_lmli.private_seg_size, 0
	.set _ZL18rocblas_ger_kernelILi32ELi32ELi2ELb0E19rocblas_complex_numIdEPKS1_PKS3_PKPS1_EviiT4_lT5_lllSA_lllT6_lmli.uses_vcc, 1
	.set _ZL18rocblas_ger_kernelILi32ELi32ELi2ELb0E19rocblas_complex_numIdEPKS1_PKS3_PKPS1_EviiT4_lT5_lllSA_lllT6_lmli.uses_flat_scratch, 0
	.set _ZL18rocblas_ger_kernelILi32ELi32ELi2ELb0E19rocblas_complex_numIdEPKS1_PKS3_PKPS1_EviiT4_lT5_lllSA_lllT6_lmli.has_dyn_sized_stack, 0
	.set _ZL18rocblas_ger_kernelILi32ELi32ELi2ELb0E19rocblas_complex_numIdEPKS1_PKS3_PKPS1_EviiT4_lT5_lllSA_lllT6_lmli.has_recursion, 0
	.set _ZL18rocblas_ger_kernelILi32ELi32ELi2ELb0E19rocblas_complex_numIdEPKS1_PKS3_PKPS1_EviiT4_lT5_lllSA_lllT6_lmli.has_indirect_call, 0
	.section	.AMDGPU.csdata,"",@progbits
; Kernel info:
; codeLenInByte = 1256
; TotalNumSgprs: 36
; NumVgprs: 32
; ScratchSize: 0
; MemoryBound: 1
; FloatMode: 240
; IeeeMode: 1
; LDSByteSize: 1536 bytes/workgroup (compile time only)
; SGPRBlocks: 0
; VGPRBlocks: 3
; NumSGPRsForWavesPerEU: 36
; NumVGPRsForWavesPerEU: 32
; Occupancy: 16
; WaveLimiterHint : 1
; COMPUTE_PGM_RSRC2:SCRATCH_EN: 0
; COMPUTE_PGM_RSRC2:USER_SGPR: 2
; COMPUTE_PGM_RSRC2:TRAP_HANDLER: 0
; COMPUTE_PGM_RSRC2:TGID_X_EN: 1
; COMPUTE_PGM_RSRC2:TGID_Y_EN: 0
; COMPUTE_PGM_RSRC2:TGID_Z_EN: 1
; COMPUTE_PGM_RSRC2:TIDIG_COMP_CNT: 1
	.section	.text._ZL18rocblas_ger_kernelILi32ELi32ELi2ELb0E19rocblas_complex_numIdES1_PKPKS1_PKPS1_EviiT4_lT5_lllSA_lllT6_lmli,"axG",@progbits,_ZL18rocblas_ger_kernelILi32ELi32ELi2ELb0E19rocblas_complex_numIdES1_PKPKS1_PKPS1_EviiT4_lT5_lllSA_lllT6_lmli,comdat
	.globl	_ZL18rocblas_ger_kernelILi32ELi32ELi2ELb0E19rocblas_complex_numIdES1_PKPKS1_PKPS1_EviiT4_lT5_lllSA_lllT6_lmli ; -- Begin function _ZL18rocblas_ger_kernelILi32ELi32ELi2ELb0E19rocblas_complex_numIdES1_PKPKS1_PKPS1_EviiT4_lT5_lllSA_lllT6_lmli
	.p2align	8
	.type	_ZL18rocblas_ger_kernelILi32ELi32ELi2ELb0E19rocblas_complex_numIdES1_PKPKS1_PKPS1_EviiT4_lT5_lllSA_lllT6_lmli,@function
_ZL18rocblas_ger_kernelILi32ELi32ELi2ELb0E19rocblas_complex_numIdES1_PKPKS1_PKPS1_EviiT4_lT5_lllSA_lllT6_lmli: ; @_ZL18rocblas_ger_kernelILi32ELi32ELi2ELb0E19rocblas_complex_numIdES1_PKPKS1_PKPS1_EviiT4_lT5_lllSA_lllT6_lmli
; %bb.0:
	s_load_b32 s30, s[0:1], 0x80
	s_lshr_b32 s6, ttmp7, 16
	s_wait_kmcnt 0x0
	s_cmp_ge_u32 s6, s30
	s_cbranch_scc1 .LBB61_18
; %bb.1:
	s_clause 0x7
	s_load_b64 s[4:5], s[0:1], 0x0
	s_load_b128 s[8:11], s[0:1], 0x8
	s_load_b64 s[24:25], s[0:1], 0x20
	s_load_b128 s[12:15], s[0:1], 0x28
	;; [unrolled: 2-line block ×4, first 2 shown]
	v_and_b32_e32 v2, 0x3ff, v0
	s_wait_kmcnt 0x0
	s_add_co_i32 s2, s4, -1
	s_delay_alu instid0(SALU_CYCLE_1) | instskip(NEXT) | instid1(SALU_CYCLE_1)
	s_ashr_i32 s3, s2, 31
	s_lshr_b32 s3, s3, 27
	s_delay_alu instid0(SALU_CYCLE_1) | instskip(NEXT) | instid1(SALU_CYCLE_1)
	s_add_co_i32 s2, s2, s3
	s_ashr_i32 s2, s2, 5
	s_delay_alu instid0(SALU_CYCLE_1) | instskip(SKIP_2) | instid1(SALU_CYCLE_3)
	s_add_co_i32 s3, s2, 1
	s_not_b32 s1, s2
	s_cvt_f32_u32 s7, s3
	v_rcp_iflag_f32_e32 v1, s7
	s_delay_alu instid0(TRANS32_DEP_1) | instskip(SKIP_2) | instid1(VALU_DEP_1)
	v_readfirstlane_b32 s7, v1
	v_bfe_u32 v1, v0, 10, 10
	s_mul_f32 s7, s7, 0x4f7ffffe
	v_lshlrev_b32_e32 v0, 1, v1
	v_lshlrev_b32_e32 v14, 5, v1
	s_wait_alu 0xfffe
	s_cvt_u32_f32 s0, s7
	s_mov_b32 s7, 0
	s_delay_alu instid0(SALU_CYCLE_2) | instskip(NEXT) | instid1(SALU_CYCLE_1)
	s_mul_i32 s1, s1, s0
	s_mul_hi_u32 s1, s0, s1
	s_delay_alu instid0(SALU_CYCLE_1) | instskip(SKIP_2) | instid1(SALU_CYCLE_1)
	s_add_co_i32 s1, s0, s1
	v_cmp_eq_u32_e64 s0, 0, v1
	s_mul_hi_u32 s2, ttmp9, s1
	s_mul_i32 s31, s2, s3
	s_add_co_i32 s33, s2, 1
	s_sub_co_i32 s31, ttmp9, s31
	s_delay_alu instid0(SALU_CYCLE_1)
	s_sub_co_i32 s34, s31, s3
	s_cmp_ge_u32 s31, s3
	s_cselect_b32 s2, s33, s2
	s_cselect_b32 s31, s34, s31
	s_add_co_i32 s33, s2, 1
	s_cmp_ge_u32 s31, s3
	v_cmp_neq_f64_e64 s31, s[8:9], 0
	s_cselect_b32 s2, s33, s2
	v_cmp_neq_f64_e64 s33, s[10:11], 0
	v_lshl_add_u32 v6, s2, 6, v0
	s_mul_i32 s2, s2, s3
	s_lshl_b64 s[12:13], s[12:13], 4
	s_wait_alu 0xfffe
	s_sub_co_i32 s2, ttmp9, s2
	s_wait_alu 0xfffe
	v_lshl_add_u32 v0, s2, 5, v2
	v_or_b32_e32 v7, v6, v2
	v_ashrrev_i32_e32 v4, 31, v6
	v_or_b32_e32 v18, 1, v6
	v_mul_lo_u32 v17, s23, v6
	v_ashrrev_i32_e32 v1, 31, v0
	v_mad_co_u64_u32 v[12:13], null, s18, v7, 0
	v_mul_lo_u32 v20, s22, v4
	v_mul_lo_u32 v19, s15, v0
	v_mad_co_u64_u32 v[10:11], null, s14, v0, 0
	v_mul_lo_u32 v21, s23, v18
	v_mad_co_u64_u32 v[8:9], null, s22, v18, 0
	v_mov_b32_e32 v4, v13
	v_mul_lo_u32 v13, s14, v1
	v_cmp_gt_i32_e64 s2, s5, v6
	v_cmp_gt_i32_e64 s3, s4, v0
	v_cmp_gt_u32_e64 s4, s5, v7
	v_mad_co_u64_u32 v[4:5], null, s19, v7, v[4:5]
	v_add3_u32 v9, v9, v20, v21
	v_cmp_gt_i32_e64 s5, s5, v18
	v_add3_u32 v11, v11, v13, v19
	s_lshl_b64 s[14:15], s[16:17], 4
	s_lshl_b64 s[16:17], s[20:21], 4
	v_lshlrev_b64_e32 v[8:9], 4, v[8:9]
	v_mov_b32_e32 v13, v4
	v_lshlrev_b32_e32 v3, 4, v2
	v_cmp_gt_u32_e64 s1, 2, v2
	v_lshlrev_b64_e32 v[4:5], 4, v[0:1]
	v_lshlrev_b64_e32 v[10:11], 4, v[10:11]
	;; [unrolled: 1-line block ×3, first 2 shown]
	v_add_nc_u32_e32 v15, 0x400, v3
	v_add_nc_u32_e32 v16, v14, v3
	v_mad_co_u64_u32 v[2:3], null, s22, v6, 0
	s_or_b32 s31, s31, s33
	v_add3_u32 v3, v3, v20, v17
	s_delay_alu instid0(VALU_DEP_1)
	v_lshlrev_b64_e32 v[6:7], 4, v[2:3]
	s_branch .LBB61_4
.LBB61_2:                               ;   in Loop: Header=BB61_4 Depth=1
	s_wait_alu 0xfffe
	s_or_b32 exec_lo, exec_lo, s20
.LBB61_3:                               ;   in Loop: Header=BB61_4 Depth=1
	s_add_co_i32 s6, s6, 0x10000
	s_wait_alu 0xfffe
	s_cmp_lt_u32 s6, s30
	s_cbranch_scc0 .LBB61_18
.LBB61_4:                               ; =>This Inner Loop Header: Depth=1
	s_and_not1_b32 vcc_lo, exec_lo, s31
	s_wait_alu 0xfffe
	s_cbranch_vccnz .LBB61_3
; %bb.5:                                ;   in Loop: Header=BB61_4 Depth=1
	s_lshl_b64 s[22:23], s[6:7], 3
	s_wait_alu 0xfffe
	s_add_nc_u64 s[18:19], s[26:27], s[22:23]
	s_add_nc_u64 s[34:35], s[28:29], s[22:23]
	s_load_b64 s[20:21], s[18:19], 0x0
	s_load_b64 s[18:19], s[34:35], 0x0
	s_and_saveexec_b32 s33, s0
	s_cbranch_execz .LBB61_9
; %bb.6:                                ;   in Loop: Header=BB61_4 Depth=1
	v_mov_b32_e32 v0, 0
	v_dual_mov_b32 v1, 0 :: v_dual_mov_b32 v2, 0
	v_mov_b32_e32 v3, 0
	s_and_saveexec_b32 s34, s3
	s_cbranch_execz .LBB61_8
; %bb.7:                                ;   in Loop: Header=BB61_4 Depth=1
	s_add_nc_u64 s[22:23], s[24:25], s[22:23]
	s_load_b64 s[22:23], s[22:23], 0x0
	s_wait_kmcnt 0x0
	s_add_nc_u64 s[22:23], s[22:23], s[12:13]
	s_wait_alu 0xfffe
	v_add_co_u32 v0, vcc_lo, s22, v10
	s_wait_alu 0xfffd
	v_add_co_ci_u32_e64 v1, null, s23, v11, vcc_lo
	flat_load_b128 v[0:3], v[0:1]
.LBB61_8:                               ;   in Loop: Header=BB61_4 Depth=1
	s_or_b32 exec_lo, exec_lo, s34
	s_wait_loadcnt_dscnt 0x0
	ds_store_b128 v15, v[0:3]
.LBB61_9:                               ;   in Loop: Header=BB61_4 Depth=1
	s_or_b32 exec_lo, exec_lo, s33
	s_and_saveexec_b32 s22, s1
	s_cbranch_execz .LBB61_13
; %bb.10:                               ;   in Loop: Header=BB61_4 Depth=1
	v_mov_b32_e32 v0, 0
	v_dual_mov_b32 v1, 0 :: v_dual_mov_b32 v2, 0
	v_mov_b32_e32 v3, 0
	s_and_saveexec_b32 s23, s4
	s_cbranch_execz .LBB61_12
; %bb.11:                               ;   in Loop: Header=BB61_4 Depth=1
	s_wait_kmcnt 0x0
	s_add_nc_u64 s[20:21], s[20:21], s[14:15]
	s_wait_alu 0xfffe
	v_add_co_u32 v0, vcc_lo, s20, v12
	s_wait_alu 0xfffd
	v_add_co_ci_u32_e64 v1, null, s21, v13, vcc_lo
	flat_load_b128 v[0:3], v[0:1]
.LBB61_12:                              ;   in Loop: Header=BB61_4 Depth=1
	s_wait_alu 0xfffe
	s_or_b32 exec_lo, exec_lo, s23
	s_wait_loadcnt_dscnt 0x0
	ds_store_b128 v16, v[0:3]
.LBB61_13:                              ;   in Loop: Header=BB61_4 Depth=1
	s_wait_alu 0xfffe
	s_or_b32 exec_lo, exec_lo, s22
	s_wait_dscnt 0x0
	s_barrier_signal -1
	s_barrier_wait -1
	global_inv scope:SCOPE_SE
	s_wait_kmcnt 0x0
	s_and_saveexec_b32 s20, s3
	s_cbranch_execz .LBB61_2
; %bb.14:                               ;   in Loop: Header=BB61_4 Depth=1
	ds_load_b128 v[17:20], v15
	s_add_nc_u64 s[18:19], s[18:19], s[16:17]
	s_wait_dscnt 0x0
	v_mul_f64_e32 v[0:1], s[10:11], v[19:20]
	v_mul_f64_e32 v[2:3], s[8:9], v[19:20]
	s_delay_alu instid0(VALU_DEP_2) | instskip(NEXT) | instid1(VALU_DEP_2)
	v_fma_f64 v[0:1], s[8:9], v[17:18], -v[0:1]
	v_fma_f64 v[2:3], s[10:11], v[17:18], v[2:3]
	s_wait_alu 0xfffe
	v_add_co_u32 v17, vcc_lo, s18, v4
	s_wait_alu 0xfffd
	v_add_co_ci_u32_e64 v18, null, s19, v5, vcc_lo
	s_and_saveexec_b32 s18, s2
	s_cbranch_execz .LBB61_16
; %bb.15:                               ;   in Loop: Header=BB61_4 Depth=1
	v_add_co_u32 v27, vcc_lo, v17, v6
	s_wait_alu 0xfffd
	v_add_co_ci_u32_e64 v28, null, v18, v7, vcc_lo
	ds_load_b128 v[23:26], v14
	flat_load_b128 v[19:22], v[27:28]
	s_wait_dscnt 0x1
	v_mul_f64_e32 v[29:30], v[2:3], v[25:26]
	v_mul_f64_e32 v[25:26], v[0:1], v[25:26]
	s_delay_alu instid0(VALU_DEP_2) | instskip(NEXT) | instid1(VALU_DEP_2)
	v_fma_f64 v[29:30], v[0:1], v[23:24], -v[29:30]
	v_fma_f64 v[23:24], v[2:3], v[23:24], v[25:26]
	s_wait_loadcnt_dscnt 0x0
	s_delay_alu instid0(VALU_DEP_2) | instskip(NEXT) | instid1(VALU_DEP_2)
	v_add_f64_e32 v[19:20], v[19:20], v[29:30]
	v_add_f64_e32 v[21:22], v[23:24], v[21:22]
	flat_store_b128 v[27:28], v[19:22]
.LBB61_16:                              ;   in Loop: Header=BB61_4 Depth=1
	s_wait_alu 0xfffe
	s_or_b32 exec_lo, exec_lo, s18
	s_delay_alu instid0(SALU_CYCLE_1)
	s_and_b32 exec_lo, exec_lo, s5
	s_cbranch_execz .LBB61_2
; %bb.17:                               ;   in Loop: Header=BB61_4 Depth=1
	v_add_co_u32 v25, vcc_lo, v17, v8
	s_wait_alu 0xfffd
	v_add_co_ci_u32_e64 v26, null, v18, v9, vcc_lo
	ds_load_b128 v[21:24], v14 offset:16
	flat_load_b128 v[17:20], v[25:26]
	s_wait_dscnt 0x1
	v_mul_f64_e32 v[27:28], v[2:3], v[23:24]
	v_mul_f64_e32 v[23:24], v[0:1], v[23:24]
	s_delay_alu instid0(VALU_DEP_2) | instskip(NEXT) | instid1(VALU_DEP_2)
	v_fma_f64 v[0:1], v[0:1], v[21:22], -v[27:28]
	v_fma_f64 v[2:3], v[2:3], v[21:22], v[23:24]
	s_wait_loadcnt_dscnt 0x0
	s_delay_alu instid0(VALU_DEP_2) | instskip(NEXT) | instid1(VALU_DEP_2)
	v_add_f64_e32 v[0:1], v[17:18], v[0:1]
	v_add_f64_e32 v[2:3], v[2:3], v[19:20]
	flat_store_b128 v[25:26], v[0:3]
	s_branch .LBB61_2
.LBB61_18:
	s_endpgm
	.section	.rodata,"a",@progbits
	.p2align	6, 0x0
	.amdhsa_kernel _ZL18rocblas_ger_kernelILi32ELi32ELi2ELb0E19rocblas_complex_numIdES1_PKPKS1_PKPS1_EviiT4_lT5_lllSA_lllT6_lmli
		.amdhsa_group_segment_fixed_size 1536
		.amdhsa_private_segment_fixed_size 0
		.amdhsa_kernarg_size 132
		.amdhsa_user_sgpr_count 2
		.amdhsa_user_sgpr_dispatch_ptr 0
		.amdhsa_user_sgpr_queue_ptr 0
		.amdhsa_user_sgpr_kernarg_segment_ptr 1
		.amdhsa_user_sgpr_dispatch_id 0
		.amdhsa_user_sgpr_private_segment_size 0
		.amdhsa_wavefront_size32 1
		.amdhsa_uses_dynamic_stack 0
		.amdhsa_enable_private_segment 0
		.amdhsa_system_sgpr_workgroup_id_x 1
		.amdhsa_system_sgpr_workgroup_id_y 0
		.amdhsa_system_sgpr_workgroup_id_z 1
		.amdhsa_system_sgpr_workgroup_info 0
		.amdhsa_system_vgpr_workitem_id 1
		.amdhsa_next_free_vgpr 31
		.amdhsa_next_free_sgpr 36
		.amdhsa_reserve_vcc 1
		.amdhsa_float_round_mode_32 0
		.amdhsa_float_round_mode_16_64 0
		.amdhsa_float_denorm_mode_32 3
		.amdhsa_float_denorm_mode_16_64 3
		.amdhsa_fp16_overflow 0
		.amdhsa_workgroup_processor_mode 1
		.amdhsa_memory_ordered 1
		.amdhsa_forward_progress 1
		.amdhsa_inst_pref_size 10
		.amdhsa_round_robin_scheduling 0
		.amdhsa_exception_fp_ieee_invalid_op 0
		.amdhsa_exception_fp_denorm_src 0
		.amdhsa_exception_fp_ieee_div_zero 0
		.amdhsa_exception_fp_ieee_overflow 0
		.amdhsa_exception_fp_ieee_underflow 0
		.amdhsa_exception_fp_ieee_inexact 0
		.amdhsa_exception_int_div_zero 0
	.end_amdhsa_kernel
	.section	.text._ZL18rocblas_ger_kernelILi32ELi32ELi2ELb0E19rocblas_complex_numIdES1_PKPKS1_PKPS1_EviiT4_lT5_lllSA_lllT6_lmli,"axG",@progbits,_ZL18rocblas_ger_kernelILi32ELi32ELi2ELb0E19rocblas_complex_numIdES1_PKPKS1_PKPS1_EviiT4_lT5_lllSA_lllT6_lmli,comdat
.Lfunc_end61:
	.size	_ZL18rocblas_ger_kernelILi32ELi32ELi2ELb0E19rocblas_complex_numIdES1_PKPKS1_PKPS1_EviiT4_lT5_lllSA_lllT6_lmli, .Lfunc_end61-_ZL18rocblas_ger_kernelILi32ELi32ELi2ELb0E19rocblas_complex_numIdES1_PKPKS1_PKPS1_EviiT4_lT5_lllSA_lllT6_lmli
                                        ; -- End function
	.set _ZL18rocblas_ger_kernelILi32ELi32ELi2ELb0E19rocblas_complex_numIdES1_PKPKS1_PKPS1_EviiT4_lT5_lllSA_lllT6_lmli.num_vgpr, 31
	.set _ZL18rocblas_ger_kernelILi32ELi32ELi2ELb0E19rocblas_complex_numIdES1_PKPKS1_PKPS1_EviiT4_lT5_lllSA_lllT6_lmli.num_agpr, 0
	.set _ZL18rocblas_ger_kernelILi32ELi32ELi2ELb0E19rocblas_complex_numIdES1_PKPKS1_PKPS1_EviiT4_lT5_lllSA_lllT6_lmli.numbered_sgpr, 36
	.set _ZL18rocblas_ger_kernelILi32ELi32ELi2ELb0E19rocblas_complex_numIdES1_PKPKS1_PKPS1_EviiT4_lT5_lllSA_lllT6_lmli.num_named_barrier, 0
	.set _ZL18rocblas_ger_kernelILi32ELi32ELi2ELb0E19rocblas_complex_numIdES1_PKPKS1_PKPS1_EviiT4_lT5_lllSA_lllT6_lmli.private_seg_size, 0
	.set _ZL18rocblas_ger_kernelILi32ELi32ELi2ELb0E19rocblas_complex_numIdES1_PKPKS1_PKPS1_EviiT4_lT5_lllSA_lllT6_lmli.uses_vcc, 1
	.set _ZL18rocblas_ger_kernelILi32ELi32ELi2ELb0E19rocblas_complex_numIdES1_PKPKS1_PKPS1_EviiT4_lT5_lllSA_lllT6_lmli.uses_flat_scratch, 0
	.set _ZL18rocblas_ger_kernelILi32ELi32ELi2ELb0E19rocblas_complex_numIdES1_PKPKS1_PKPS1_EviiT4_lT5_lllSA_lllT6_lmli.has_dyn_sized_stack, 0
	.set _ZL18rocblas_ger_kernelILi32ELi32ELi2ELb0E19rocblas_complex_numIdES1_PKPKS1_PKPS1_EviiT4_lT5_lllSA_lllT6_lmli.has_recursion, 0
	.set _ZL18rocblas_ger_kernelILi32ELi32ELi2ELb0E19rocblas_complex_numIdES1_PKPKS1_PKPS1_EviiT4_lT5_lllSA_lllT6_lmli.has_indirect_call, 0
	.section	.AMDGPU.csdata,"",@progbits
; Kernel info:
; codeLenInByte = 1172
; TotalNumSgprs: 38
; NumVgprs: 31
; ScratchSize: 0
; MemoryBound: 1
; FloatMode: 240
; IeeeMode: 1
; LDSByteSize: 1536 bytes/workgroup (compile time only)
; SGPRBlocks: 0
; VGPRBlocks: 3
; NumSGPRsForWavesPerEU: 38
; NumVGPRsForWavesPerEU: 31
; Occupancy: 16
; WaveLimiterHint : 1
; COMPUTE_PGM_RSRC2:SCRATCH_EN: 0
; COMPUTE_PGM_RSRC2:USER_SGPR: 2
; COMPUTE_PGM_RSRC2:TRAP_HANDLER: 0
; COMPUTE_PGM_RSRC2:TGID_X_EN: 1
; COMPUTE_PGM_RSRC2:TGID_Y_EN: 0
; COMPUTE_PGM_RSRC2:TGID_Z_EN: 1
; COMPUTE_PGM_RSRC2:TIDIG_COMP_CNT: 1
	.section	.text._ZL34rocblas_ger_double_buffered_kernelILb1ELi64ELi16ELi2E19rocblas_complex_numIfE24rocblas_internal_val_ptrIS1_EPKPKS1_PKPS1_EvbiiT4_lT5_lllSC_lllT6_lmli,"axG",@progbits,_ZL34rocblas_ger_double_buffered_kernelILb1ELi64ELi16ELi2E19rocblas_complex_numIfE24rocblas_internal_val_ptrIS1_EPKPKS1_PKPS1_EvbiiT4_lT5_lllSC_lllT6_lmli,comdat
	.globl	_ZL34rocblas_ger_double_buffered_kernelILb1ELi64ELi16ELi2E19rocblas_complex_numIfE24rocblas_internal_val_ptrIS1_EPKPKS1_PKPS1_EvbiiT4_lT5_lllSC_lllT6_lmli ; -- Begin function _ZL34rocblas_ger_double_buffered_kernelILb1ELi64ELi16ELi2E19rocblas_complex_numIfE24rocblas_internal_val_ptrIS1_EPKPKS1_PKPS1_EvbiiT4_lT5_lllSC_lllT6_lmli
	.p2align	8
	.type	_ZL34rocblas_ger_double_buffered_kernelILb1ELi64ELi16ELi2E19rocblas_complex_numIfE24rocblas_internal_val_ptrIS1_EPKPKS1_PKPS1_EvbiiT4_lT5_lllSC_lllT6_lmli,@function
_ZL34rocblas_ger_double_buffered_kernelILb1ELi64ELi16ELi2E19rocblas_complex_numIfE24rocblas_internal_val_ptrIS1_EPKPKS1_PKPS1_EvbiiT4_lT5_lllSC_lllT6_lmli: ; @_ZL34rocblas_ger_double_buffered_kernelILb1ELi64ELi16ELi2E19rocblas_complex_numIfE24rocblas_internal_val_ptrIS1_EPKPKS1_PKPS1_EvbiiT4_lT5_lllSC_lllT6_lmli
; %bb.0:
	s_load_b32 s30, s[0:1], 0x80
	s_lshr_b32 s2, ttmp7, 16
	s_wait_kmcnt 0x0
	s_cmp_ge_u32 s2, s30
	s_cbranch_scc1 .LBB62_8
; %bb.1:
	s_load_b128 s[12:15], s[0:1], 0x28
	v_and_b32_e32 v17, 31, v0
	v_lshrrev_b32_e32 v1, 4, v0
	s_clause 0x6
	s_load_b128 s[8:11], s[0:1], 0x68
	s_load_b64 s[20:21], s[0:1], 0x60
	s_load_b64 s[22:23], s[0:1], 0x20
	;; [unrolled: 1-line block ×3, first 2 shown]
	s_load_b128 s[16:19], s[0:1], 0x48
	s_load_b32 s26, s[0:1], 0x0
	s_load_b128 s[4:7], s[0:1], 0x10
	v_or_b32_e32 v12, 32, v17
	v_and_b32_e32 v1, 0xffc0, v1
	s_mov_b32 s3, 0
	s_delay_alu instid0(SALU_CYCLE_1) | instskip(SKIP_4) | instid1(VALU_DEP_1)
	s_mov_b32 s1, s3
	s_wait_kmcnt 0x0
	v_mad_co_u64_u32 v[6:7], null, s14, v12, 0
	v_and_b32_e32 v2, 0x3ff, v0
	s_bitcmp1_b32 s26, 0
	v_add_nc_u32_e32 v1, v1, v2
	s_cselect_b32 s31, -1, 0
	s_and_b32 s0, ttmp7, 0xffff
	s_lshl_b32 s26, ttmp9, 6
	s_lshl_b32 s0, s0, 6
	v_lshrrev_b32_e32 v2, 4, v1
	v_mad_co_u64_u32 v[0:1], null, s14, v17, 0
	s_mul_u64 s[28:29], s[10:11], s[0:1]
	s_mul_u64 s[36:37], s[18:19], s[0:1]
	v_and_b32_e32 v15, 0x1ffe, v2
	v_or_b32_e32 v16, 1, v2
	s_xor_b32 s0, s31, -1
	s_ashr_i32 s27, s26, 31
	s_lshl_b64 s[8:9], s[8:9], 3
	v_mad_co_u64_u32 v[4:5], null, s10, v15, 0
	v_mad_co_u64_u32 v[8:9], null, s18, v15, 0
	;; [unrolled: 1-line block ×3, first 2 shown]
	s_mul_u64 s[34:35], s[14:15], s[26:27]
	s_lshl_b64 s[12:13], s[12:13], 3
	v_dual_mov_b32 v2, v5 :: v_dual_mov_b32 v5, v11
	s_delay_alu instid0(VALU_DEP_1) | instskip(SKIP_2) | instid1(VALU_DEP_1)
	v_mad_co_u64_u32 v[2:3], null, s11, v15, v[2:3]
	v_mov_b32_e32 v3, v7
	s_lshl_b64 s[10:11], s[10:11], 3
	v_mad_co_u64_u32 v[11:12], null, s15, v12, v[3:4]
	s_delay_alu instid0(VALU_DEP_3) | instskip(SKIP_3) | instid1(VALU_DEP_3)
	v_mad_co_u64_u32 v[13:14], null, s15, v17, v[1:2]
	v_dual_mov_b32 v1, v9 :: v_dual_mov_b32 v12, 0
	s_lshl_b64 s[14:15], s[16:17], 3
	s_lshl_b64 s[16:17], s[26:27], 3
	v_mov_b32_e32 v7, v11
	s_delay_alu instid0(VALU_DEP_2)
	v_mad_co_u64_u32 v[14:15], null, s19, v15, v[1:2]
	v_mad_co_u64_u32 v[15:16], null, s19, v16, v[5:6]
	v_mov_b32_e32 v5, v2
	v_cndmask_b32_e64 v2, 0, 1, s0
	v_mov_b32_e32 v1, v13
	v_lshlrev_b32_e32 v13, 3, v17
	v_mov_b32_e32 v9, v14
	v_lshlrev_b64_e32 v[4:5], 3, v[4:5]
	v_mov_b32_e32 v11, v15
	v_cmp_ne_u32_e64 s0, 1, v2
	v_lshlrev_b64_e32 v[0:1], 3, v[0:1]
	v_lshlrev_b64_e32 v[2:3], 3, v[6:7]
	;; [unrolled: 1-line block ×4, first 2 shown]
	s_lshl_b64 s[18:19], s[28:29], 3
	s_lshl_b64 s[26:27], s[34:35], 3
	;; [unrolled: 1-line block ×3, first 2 shown]
	s_branch .LBB62_3
.LBB62_2:                               ;   in Loop: Header=BB62_3 Depth=1
	s_add_co_i32 s2, s2, 0x10000
	s_delay_alu instid0(SALU_CYCLE_1)
	s_cmp_lt_u32 s2, s30
	s_cbranch_scc0 .LBB62_8
.LBB62_3:                               ; =>This Inner Loop Header: Depth=1
	s_and_b32 vcc_lo, exec_lo, s0
	s_wait_alu 0xfffe
	s_cbranch_vccnz .LBB62_5
; %bb.4:                                ;   in Loop: Header=BB62_3 Depth=1
	s_mul_u64 s[34:35], s[6:7], s[2:3]
	s_wait_alu 0xfffe
	s_lshl_b64 s[34:35], s[34:35], 3
	s_wait_alu 0xfffe
	s_add_nc_u64 s[34:35], s[4:5], s[34:35]
	global_load_b64 v[10:11], v12, s[34:35]
	s_branch .LBB62_6
.LBB62_5:                               ;   in Loop: Header=BB62_3 Depth=1
	v_dual_mov_b32 v11, s5 :: v_dual_mov_b32 v10, s4
.LBB62_6:                               ;   in Loop: Header=BB62_3 Depth=1
	s_wait_loadcnt 0x0
	s_delay_alu instid0(VALU_DEP_1) | instskip(NEXT) | instid1(VALU_DEP_2)
	v_cmp_neq_f32_e32 vcc_lo, 0, v10
	v_cmp_neq_f32_e64 s1, 0, v11
	s_or_b32 s1, vcc_lo, s1
	s_wait_alu 0xfffe
	s_and_not1_b32 vcc_lo, exec_lo, s1
	s_wait_alu 0xfffe
	s_cbranch_vccnz .LBB62_2
; %bb.7:                                ;   in Loop: Header=BB62_3 Depth=1
	s_lshl_b64 s[34:35], s[2:3], 3
	s_wait_alu 0xfffe
	s_add_nc_u64 s[36:37], s[20:21], s[34:35]
	s_add_nc_u64 s[38:39], s[24:25], s[34:35]
	;; [unrolled: 1-line block ×3, first 2 shown]
	s_load_b64 s[36:37], s[36:37], 0x0
	s_load_b64 s[34:35], s[34:35], 0x0
	;; [unrolled: 1-line block ×3, first 2 shown]
	s_wait_kmcnt 0x0
	s_add_nc_u64 s[36:37], s[36:37], s[8:9]
	s_add_nc_u64 s[34:35], s[34:35], s[12:13]
	;; [unrolled: 1-line block ×3, first 2 shown]
	s_wait_alu 0xfffe
	s_add_nc_u64 s[34:35], s[34:35], s[26:27]
	s_add_nc_u64 s[38:39], s[38:39], s[28:29]
	s_wait_alu 0xfffe
	v_add_co_u32 v14, vcc_lo, s34, v0
	s_wait_alu 0xfffd
	v_add_co_ci_u32_e64 v15, null, s35, v1, vcc_lo
	v_add_co_u32 v16, vcc_lo, s34, v2
	s_wait_alu 0xfffd
	v_add_co_ci_u32_e64 v17, null, s35, v3, vcc_lo
	s_clause 0x1
	flat_load_b64 v[14:15], v[14:15]
	flat_load_b64 v[16:17], v[16:17]
	v_add_co_u32 v18, vcc_lo, s38, v6
	s_add_nc_u64 s[34:35], s[36:37], s[16:17]
	s_wait_alu 0xfffd
	v_add_co_ci_u32_e64 v19, null, s39, v7, vcc_lo
	v_add_co_u32 v20, vcc_lo, s38, v8
	s_wait_alu 0xfffe
	s_add_nc_u64 s[34:35], s[34:35], s[18:19]
	s_wait_alu 0xfffd
	v_add_co_ci_u32_e64 v21, null, s39, v9, vcc_lo
	s_wait_alu 0xfffe
	v_add_co_u32 v22, vcc_lo, s34, v4
	s_wait_alu 0xfffd
	v_add_co_ci_u32_e64 v23, null, s35, v5, vcc_lo
	s_clause 0x1
	flat_load_b64 v[18:19], v[18:19]
	flat_load_b64 v[20:21], v[20:21]
	v_add_co_u32 v22, vcc_lo, v22, v13
	s_wait_alu 0xfffd
	v_add_co_ci_u32_e64 v23, null, 0, v23, vcc_lo
	s_delay_alu instid0(VALU_DEP_2) | instskip(SKIP_1) | instid1(VALU_DEP_2)
	v_add_co_u32 v24, vcc_lo, v22, s10
	s_wait_alu 0xfffd
	v_add_co_ci_u32_e64 v25, null, s11, v23, vcc_lo
	s_clause 0x3
	flat_load_b64 v[26:27], v[22:23]
	flat_load_b64 v[28:29], v[24:25]
	flat_load_b64 v[30:31], v[24:25] offset:256
	flat_load_b64 v[32:33], v[22:23] offset:256
	s_wait_loadcnt_dscnt 0x606
	v_dual_mul_f32 v34, v10, v15 :: v_dual_mul_f32 v35, v11, v17
	s_delay_alu instid0(VALU_DEP_1) | instskip(SKIP_1) | instid1(VALU_DEP_1)
	v_dual_mul_f32 v17, v10, v17 :: v_dual_fmac_f32 v34, v11, v14
	v_mul_f32_e32 v15, v11, v15
	v_fma_f32 v14, v10, v14, -v15
	s_delay_alu instid0(VALU_DEP_4) | instskip(SKIP_2) | instid1(VALU_DEP_1)
	v_fma_f32 v10, v10, v16, -v35
	s_wait_loadcnt_dscnt 0x404
	v_dual_fmac_f32 v17, v11, v16 :: v_dual_mul_f32 v16, v34, v21
	v_dual_mul_f32 v35, v14, v21 :: v_dual_mul_f32 v36, v17, v19
	s_delay_alu instid0(VALU_DEP_2) | instskip(SKIP_1) | instid1(VALU_DEP_3)
	v_fmac_f32_e32 v16, v14, v20
	v_mul_f32_e32 v11, v34, v19
	v_fmac_f32_e32 v36, v10, v18
	v_mul_f32_e32 v15, v14, v19
	v_mul_f32_e32 v37, v17, v21
	;; [unrolled: 1-line block ×4, first 2 shown]
	s_wait_loadcnt_dscnt 0x202
	v_dual_fmac_f32 v11, v14, v18 :: v_dual_add_f32 v14, v28, v16
	s_wait_loadcnt_dscnt 0x0
	v_add_f32_e32 v16, v32, v36
	v_fma_f32 v15, v34, v18, -v15
	v_fma_f32 v34, v34, v20, -v35
	;; [unrolled: 1-line block ×3, first 2 shown]
	v_fmac_f32_e32 v37, v10, v20
	v_fma_f32 v19, v17, v20, -v21
	v_add_f32_e32 v10, v26, v11
	v_add_f32_e32 v11, v15, v27
	;; [unrolled: 1-line block ×4, first 2 shown]
	v_dual_add_f32 v18, v30, v37 :: v_dual_add_f32 v19, v19, v31
	s_clause 0x3
	flat_store_b64 v[22:23], v[10:11]
	flat_store_b64 v[24:25], v[14:15]
	flat_store_b64 v[22:23], v[16:17] offset:256
	flat_store_b64 v[24:25], v[18:19] offset:256
	s_branch .LBB62_2
.LBB62_8:
	s_endpgm
	.section	.rodata,"a",@progbits
	.p2align	6, 0x0
	.amdhsa_kernel _ZL34rocblas_ger_double_buffered_kernelILb1ELi64ELi16ELi2E19rocblas_complex_numIfE24rocblas_internal_val_ptrIS1_EPKPKS1_PKPS1_EvbiiT4_lT5_lllSC_lllT6_lmli
		.amdhsa_group_segment_fixed_size 0
		.amdhsa_private_segment_fixed_size 0
		.amdhsa_kernarg_size 132
		.amdhsa_user_sgpr_count 2
		.amdhsa_user_sgpr_dispatch_ptr 0
		.amdhsa_user_sgpr_queue_ptr 0
		.amdhsa_user_sgpr_kernarg_segment_ptr 1
		.amdhsa_user_sgpr_dispatch_id 0
		.amdhsa_user_sgpr_private_segment_size 0
		.amdhsa_wavefront_size32 1
		.amdhsa_uses_dynamic_stack 0
		.amdhsa_enable_private_segment 0
		.amdhsa_system_sgpr_workgroup_id_x 1
		.amdhsa_system_sgpr_workgroup_id_y 1
		.amdhsa_system_sgpr_workgroup_id_z 1
		.amdhsa_system_sgpr_workgroup_info 0
		.amdhsa_system_vgpr_workitem_id 1
		.amdhsa_next_free_vgpr 38
		.amdhsa_next_free_sgpr 40
		.amdhsa_reserve_vcc 1
		.amdhsa_float_round_mode_32 0
		.amdhsa_float_round_mode_16_64 0
		.amdhsa_float_denorm_mode_32 3
		.amdhsa_float_denorm_mode_16_64 3
		.amdhsa_fp16_overflow 0
		.amdhsa_workgroup_processor_mode 1
		.amdhsa_memory_ordered 1
		.amdhsa_forward_progress 1
		.amdhsa_inst_pref_size 9
		.amdhsa_round_robin_scheduling 0
		.amdhsa_exception_fp_ieee_invalid_op 0
		.amdhsa_exception_fp_denorm_src 0
		.amdhsa_exception_fp_ieee_div_zero 0
		.amdhsa_exception_fp_ieee_overflow 0
		.amdhsa_exception_fp_ieee_underflow 0
		.amdhsa_exception_fp_ieee_inexact 0
		.amdhsa_exception_int_div_zero 0
	.end_amdhsa_kernel
	.section	.text._ZL34rocblas_ger_double_buffered_kernelILb1ELi64ELi16ELi2E19rocblas_complex_numIfE24rocblas_internal_val_ptrIS1_EPKPKS1_PKPS1_EvbiiT4_lT5_lllSC_lllT6_lmli,"axG",@progbits,_ZL34rocblas_ger_double_buffered_kernelILb1ELi64ELi16ELi2E19rocblas_complex_numIfE24rocblas_internal_val_ptrIS1_EPKPKS1_PKPS1_EvbiiT4_lT5_lllSC_lllT6_lmli,comdat
.Lfunc_end62:
	.size	_ZL34rocblas_ger_double_buffered_kernelILb1ELi64ELi16ELi2E19rocblas_complex_numIfE24rocblas_internal_val_ptrIS1_EPKPKS1_PKPS1_EvbiiT4_lT5_lllSC_lllT6_lmli, .Lfunc_end62-_ZL34rocblas_ger_double_buffered_kernelILb1ELi64ELi16ELi2E19rocblas_complex_numIfE24rocblas_internal_val_ptrIS1_EPKPKS1_PKPS1_EvbiiT4_lT5_lllSC_lllT6_lmli
                                        ; -- End function
	.set _ZL34rocblas_ger_double_buffered_kernelILb1ELi64ELi16ELi2E19rocblas_complex_numIfE24rocblas_internal_val_ptrIS1_EPKPKS1_PKPS1_EvbiiT4_lT5_lllSC_lllT6_lmli.num_vgpr, 38
	.set _ZL34rocblas_ger_double_buffered_kernelILb1ELi64ELi16ELi2E19rocblas_complex_numIfE24rocblas_internal_val_ptrIS1_EPKPKS1_PKPS1_EvbiiT4_lT5_lllSC_lllT6_lmli.num_agpr, 0
	.set _ZL34rocblas_ger_double_buffered_kernelILb1ELi64ELi16ELi2E19rocblas_complex_numIfE24rocblas_internal_val_ptrIS1_EPKPKS1_PKPS1_EvbiiT4_lT5_lllSC_lllT6_lmli.numbered_sgpr, 40
	.set _ZL34rocblas_ger_double_buffered_kernelILb1ELi64ELi16ELi2E19rocblas_complex_numIfE24rocblas_internal_val_ptrIS1_EPKPKS1_PKPS1_EvbiiT4_lT5_lllSC_lllT6_lmli.num_named_barrier, 0
	.set _ZL34rocblas_ger_double_buffered_kernelILb1ELi64ELi16ELi2E19rocblas_complex_numIfE24rocblas_internal_val_ptrIS1_EPKPKS1_PKPS1_EvbiiT4_lT5_lllSC_lllT6_lmli.private_seg_size, 0
	.set _ZL34rocblas_ger_double_buffered_kernelILb1ELi64ELi16ELi2E19rocblas_complex_numIfE24rocblas_internal_val_ptrIS1_EPKPKS1_PKPS1_EvbiiT4_lT5_lllSC_lllT6_lmli.uses_vcc, 1
	.set _ZL34rocblas_ger_double_buffered_kernelILb1ELi64ELi16ELi2E19rocblas_complex_numIfE24rocblas_internal_val_ptrIS1_EPKPKS1_PKPS1_EvbiiT4_lT5_lllSC_lllT6_lmli.uses_flat_scratch, 1
	.set _ZL34rocblas_ger_double_buffered_kernelILb1ELi64ELi16ELi2E19rocblas_complex_numIfE24rocblas_internal_val_ptrIS1_EPKPKS1_PKPS1_EvbiiT4_lT5_lllSC_lllT6_lmli.has_dyn_sized_stack, 0
	.set _ZL34rocblas_ger_double_buffered_kernelILb1ELi64ELi16ELi2E19rocblas_complex_numIfE24rocblas_internal_val_ptrIS1_EPKPKS1_PKPS1_EvbiiT4_lT5_lllSC_lllT6_lmli.has_recursion, 0
	.set _ZL34rocblas_ger_double_buffered_kernelILb1ELi64ELi16ELi2E19rocblas_complex_numIfE24rocblas_internal_val_ptrIS1_EPKPKS1_PKPS1_EvbiiT4_lT5_lllSC_lllT6_lmli.has_indirect_call, 0
	.section	.AMDGPU.csdata,"",@progbits
; Kernel info:
; codeLenInByte = 1108
; TotalNumSgprs: 42
; NumVgprs: 38
; ScratchSize: 0
; MemoryBound: 0
; FloatMode: 240
; IeeeMode: 1
; LDSByteSize: 0 bytes/workgroup (compile time only)
; SGPRBlocks: 0
; VGPRBlocks: 4
; NumSGPRsForWavesPerEU: 42
; NumVGPRsForWavesPerEU: 38
; Occupancy: 16
; WaveLimiterHint : 1
; COMPUTE_PGM_RSRC2:SCRATCH_EN: 0
; COMPUTE_PGM_RSRC2:USER_SGPR: 2
; COMPUTE_PGM_RSRC2:TRAP_HANDLER: 0
; COMPUTE_PGM_RSRC2:TGID_X_EN: 1
; COMPUTE_PGM_RSRC2:TGID_Y_EN: 1
; COMPUTE_PGM_RSRC2:TGID_Z_EN: 1
; COMPUTE_PGM_RSRC2:TIDIG_COMP_CNT: 1
	.section	.text._ZL18rocblas_ger_kernelILi32ELi32ELi2ELb1E19rocblas_complex_numIfEPKS1_PKS3_PKPS1_EviiT4_lT5_lllSA_lllT6_lmli,"axG",@progbits,_ZL18rocblas_ger_kernelILi32ELi32ELi2ELb1E19rocblas_complex_numIfEPKS1_PKS3_PKPS1_EviiT4_lT5_lllSA_lllT6_lmli,comdat
	.globl	_ZL18rocblas_ger_kernelILi32ELi32ELi2ELb1E19rocblas_complex_numIfEPKS1_PKS3_PKPS1_EviiT4_lT5_lllSA_lllT6_lmli ; -- Begin function _ZL18rocblas_ger_kernelILi32ELi32ELi2ELb1E19rocblas_complex_numIfEPKS1_PKS3_PKPS1_EviiT4_lT5_lllSA_lllT6_lmli
	.p2align	8
	.type	_ZL18rocblas_ger_kernelILi32ELi32ELi2ELb1E19rocblas_complex_numIfEPKS1_PKS3_PKPS1_EviiT4_lT5_lllSA_lllT6_lmli,@function
_ZL18rocblas_ger_kernelILi32ELi32ELi2ELb1E19rocblas_complex_numIfEPKS1_PKS3_PKPS1_EviiT4_lT5_lllSA_lllT6_lmli: ; @_ZL18rocblas_ger_kernelILi32ELi32ELi2ELb1E19rocblas_complex_numIfEPKS1_PKS3_PKPS1_EviiT4_lT5_lllSA_lllT6_lmli
; %bb.0:
	s_load_b32 s30, s[0:1], 0x78
	s_lshr_b32 s6, ttmp7, 16
	s_wait_kmcnt 0x0
	s_cmp_ge_u32 s6, s30
	s_cbranch_scc1 .LBB63_18
; %bb.1:
	s_clause 0x7
	s_load_b64 s[4:5], s[0:1], 0x0
	s_load_b128 s[8:11], s[0:1], 0x8
	s_load_b64 s[24:25], s[0:1], 0x18
	s_load_b128 s[12:15], s[0:1], 0x20
	;; [unrolled: 2-line block ×4, first 2 shown]
	s_wait_kmcnt 0x0
	s_add_co_i32 s2, s4, -1
	s_delay_alu instid0(SALU_CYCLE_1) | instskip(NEXT) | instid1(SALU_CYCLE_1)
	s_ashr_i32 s3, s2, 31
	s_lshr_b32 s3, s3, 27
	s_delay_alu instid0(SALU_CYCLE_1) | instskip(NEXT) | instid1(SALU_CYCLE_1)
	s_add_co_i32 s2, s2, s3
	s_ashr_i32 s2, s2, 5
	s_delay_alu instid0(SALU_CYCLE_1) | instskip(SKIP_2) | instid1(SALU_CYCLE_3)
	s_add_co_i32 s3, s2, 1
	s_not_b32 s2, s2
	s_cvt_f32_u32 s7, s3
	v_rcp_iflag_f32_e32 v1, s7
	s_delay_alu instid0(TRANS32_DEP_1) | instskip(SKIP_3) | instid1(VALU_DEP_2)
	v_readfirstlane_b32 s7, v1
	v_bfe_u32 v1, v0, 10, 10
	v_and_b32_e32 v0, 0x3ff, v0
	s_mul_f32 s7, s7, 0x4f7ffffe
	v_lshlrev_b32_e32 v2, 1, v1
	s_delay_alu instid0(VALU_DEP_2) | instskip(SKIP_3) | instid1(VALU_DEP_2)
	v_lshlrev_b32_e32 v3, 3, v0
	v_lshlrev_b32_e32 v14, 4, v1
	s_wait_alu 0xfffe
	s_cvt_u32_f32 s7, s7
	v_add_nc_u32_e32 v15, 0x200, v3
	s_wait_alu 0xfffe
	s_delay_alu instid0(SALU_CYCLE_1) | instskip(SKIP_2) | instid1(SALU_CYCLE_1)
	s_mul_i32 s2, s2, s7
	v_add_nc_u32_e32 v16, v14, v3
	s_mul_hi_u32 s0, s7, s2
	s_add_co_i32 s0, s7, s0
	s_mov_b32 s7, 0
	s_mul_hi_u32 s1, ttmp9, s0
	v_cmp_eq_u32_e64 s0, 0, v1
	s_mul_i32 s2, s1, s3
	s_add_co_i32 s31, s1, 1
	s_sub_co_i32 s2, ttmp9, s2
	s_delay_alu instid0(SALU_CYCLE_1)
	s_sub_co_i32 s33, s2, s3
	s_cmp_ge_u32 s2, s3
	s_cselect_b32 s1, s31, s1
	s_cselect_b32 s2, s33, s2
	s_add_co_i32 s31, s1, 1
	s_cmp_ge_u32 s2, s3
	s_cselect_b32 s2, s31, s1
	v_cmp_gt_u32_e64 s1, 2, v0
	v_lshl_add_u32 v10, s2, 6, v2
	s_mul_i32 s2, s2, s3
	s_lshl_b64 s[12:13], s[12:13], 3
	s_wait_alu 0xfffe
	s_sub_co_i32 s2, ttmp9, s2
	v_or_b32_e32 v11, v10, v0
	s_wait_alu 0xfffe
	v_lshl_add_u32 v0, s2, 5, v0
	v_ashrrev_i32_e32 v8, 31, v10
	v_or_b32_e32 v13, 1, v10
	v_mul_lo_u32 v12, s23, v10
	v_mad_co_u64_u32 v[6:7], null, s18, v11, 0
	v_ashrrev_i32_e32 v1, 31, v0
	v_mul_lo_u32 v18, s22, v8
	v_mad_co_u64_u32 v[2:3], null, s22, v10, 0
	v_mul_lo_u32 v17, s15, v0
	v_mad_co_u64_u32 v[4:5], null, s14, v0, 0
	v_mad_co_u64_u32 v[7:8], null, s19, v11, v[7:8]
	v_mul_lo_u32 v19, s23, v13
	v_mul_lo_u32 v20, s14, v1
	v_mad_co_u64_u32 v[8:9], null, s22, v13, 0
	v_add3_u32 v3, v3, v18, v12
	v_cmp_gt_i32_e64 s3, s4, v0
	v_lshlrev_b64_e32 v[0:1], 3, v[0:1]
	v_lshlrev_b64_e32 v[6:7], 3, v[6:7]
	v_cmp_gt_i32_e64 s2, s5, v10
	v_add3_u32 v5, v5, v20, v17
	v_add3_u32 v9, v9, v18, v19
	v_lshlrev_b64_e32 v[2:3], 3, v[2:3]
	v_cmp_gt_u32_e64 s4, s5, v11
	v_cmp_gt_i32_e64 s5, s5, v13
	v_lshlrev_b64_e32 v[4:5], 3, v[4:5]
	v_lshlrev_b64_e32 v[8:9], 3, v[8:9]
	v_mov_b32_e32 v17, 0
	s_lshl_b64 s[14:15], s[16:17], 3
	s_lshl_b64 s[16:17], s[20:21], 3
	s_branch .LBB63_4
.LBB63_2:                               ;   in Loop: Header=BB63_4 Depth=1
	s_wait_alu 0xfffe
	s_or_b32 exec_lo, exec_lo, s20
.LBB63_3:                               ;   in Loop: Header=BB63_4 Depth=1
	s_add_co_i32 s6, s6, 0x10000
	s_wait_alu 0xfffe
	s_cmp_lt_u32 s6, s30
	s_cbranch_scc0 .LBB63_18
.LBB63_4:                               ; =>This Inner Loop Header: Depth=1
	s_mul_u64 s[18:19], s[10:11], s[6:7]
	s_wait_alu 0xfffe
	s_lshl_b64 s[18:19], s[18:19], 3
	s_wait_alu 0xfffe
	s_add_nc_u64 s[18:19], s[8:9], s[18:19]
	global_load_b64 v[10:11], v17, s[18:19]
	s_wait_loadcnt 0x0
	v_or_b32_e32 v12, v10, v11
	s_delay_alu instid0(VALU_DEP_1) | instskip(NEXT) | instid1(VALU_DEP_1)
	v_and_b32_e32 v12, 0x7fffffff, v12
	v_cmp_eq_u32_e32 vcc_lo, 0, v12
	s_cbranch_vccnz .LBB63_3
; %bb.5:                                ;   in Loop: Header=BB63_4 Depth=1
	s_lshl_b64 s[22:23], s[6:7], 3
	s_wait_alu 0xfffe
	s_add_nc_u64 s[18:19], s[26:27], s[22:23]
	s_add_nc_u64 s[34:35], s[28:29], s[22:23]
	s_load_b64 s[20:21], s[18:19], 0x0
	s_load_b64 s[18:19], s[34:35], 0x0
	s_and_saveexec_b32 s31, s0
	s_cbranch_execz .LBB63_9
; %bb.6:                                ;   in Loop: Header=BB63_4 Depth=1
	v_dual_mov_b32 v12, 0 :: v_dual_mov_b32 v13, 0
	s_and_saveexec_b32 s33, s3
	s_cbranch_execz .LBB63_8
; %bb.7:                                ;   in Loop: Header=BB63_4 Depth=1
	s_add_nc_u64 s[22:23], s[24:25], s[22:23]
	s_load_b64 s[22:23], s[22:23], 0x0
	s_wait_kmcnt 0x0
	s_add_nc_u64 s[22:23], s[22:23], s[12:13]
	s_wait_alu 0xfffe
	v_add_co_u32 v12, vcc_lo, s22, v4
	s_wait_alu 0xfffd
	v_add_co_ci_u32_e64 v13, null, s23, v5, vcc_lo
	flat_load_b64 v[12:13], v[12:13]
.LBB63_8:                               ;   in Loop: Header=BB63_4 Depth=1
	s_or_b32 exec_lo, exec_lo, s33
	s_wait_loadcnt_dscnt 0x0
	ds_store_b64 v15, v[12:13]
.LBB63_9:                               ;   in Loop: Header=BB63_4 Depth=1
	s_or_b32 exec_lo, exec_lo, s31
	s_and_saveexec_b32 s22, s1
	s_cbranch_execz .LBB63_13
; %bb.10:                               ;   in Loop: Header=BB63_4 Depth=1
	v_dual_mov_b32 v12, 0 :: v_dual_mov_b32 v13, 0
	s_and_saveexec_b32 s23, s4
	s_cbranch_execz .LBB63_12
; %bb.11:                               ;   in Loop: Header=BB63_4 Depth=1
	s_wait_kmcnt 0x0
	s_add_nc_u64 s[20:21], s[20:21], s[14:15]
	s_wait_alu 0xfffe
	v_add_co_u32 v12, vcc_lo, s20, v6
	s_wait_alu 0xfffd
	v_add_co_ci_u32_e64 v13, null, s21, v7, vcc_lo
	flat_load_b64 v[12:13], v[12:13]
.LBB63_12:                              ;   in Loop: Header=BB63_4 Depth=1
	s_wait_alu 0xfffe
	s_or_b32 exec_lo, exec_lo, s23
	s_wait_loadcnt_dscnt 0x0
	ds_store_b64 v16, v[12:13]
.LBB63_13:                              ;   in Loop: Header=BB63_4 Depth=1
	s_wait_alu 0xfffe
	s_or_b32 exec_lo, exec_lo, s22
	s_wait_dscnt 0x0
	s_barrier_signal -1
	s_barrier_wait -1
	global_inv scope:SCOPE_SE
	s_wait_kmcnt 0x0
	s_and_saveexec_b32 s20, s3
	s_cbranch_execz .LBB63_2
; %bb.14:                               ;   in Loop: Header=BB63_4 Depth=1
	ds_load_b64 v[18:19], v15
	s_add_nc_u64 s[18:19], s[18:19], s[16:17]
	s_wait_dscnt 0x0
	v_mul_f32_e32 v12, v19, v10
	v_mul_f32_e32 v13, v19, v11
	s_delay_alu instid0(VALU_DEP_2) | instskip(SKIP_2) | instid1(VALU_DEP_3)
	v_fmac_f32_e32 v12, v18, v11
	s_wait_alu 0xfffe
	v_add_co_u32 v11, vcc_lo, s18, v0
	v_fma_f32 v10, v18, v10, -v13
	s_wait_alu 0xfffd
	v_add_co_ci_u32_e64 v13, null, s19, v1, vcc_lo
	s_and_saveexec_b32 s18, s2
	s_cbranch_execz .LBB63_16
; %bb.15:                               ;   in Loop: Header=BB63_4 Depth=1
	v_add_co_u32 v18, vcc_lo, v11, v2
	s_wait_alu 0xfffd
	v_add_co_ci_u32_e64 v19, null, v13, v3, vcc_lo
	ds_load_b64 v[22:23], v14
	flat_load_b64 v[20:21], v[18:19]
	s_wait_dscnt 0x1
	v_mul_f32_e32 v24, v12, v23
	s_delay_alu instid0(VALU_DEP_1) | instskip(SKIP_1) | instid1(VALU_DEP_1)
	v_fmac_f32_e32 v24, v10, v22
	s_wait_loadcnt_dscnt 0x0
	v_dual_mul_f32 v23, v10, v23 :: v_dual_add_f32 v20, v20, v24
	s_delay_alu instid0(VALU_DEP_1) | instskip(NEXT) | instid1(VALU_DEP_1)
	v_fma_f32 v22, v12, v22, -v23
	v_add_f32_e32 v21, v22, v21
	flat_store_b64 v[18:19], v[20:21]
.LBB63_16:                              ;   in Loop: Header=BB63_4 Depth=1
	s_wait_alu 0xfffe
	s_or_b32 exec_lo, exec_lo, s18
	s_delay_alu instid0(SALU_CYCLE_1)
	s_and_b32 exec_lo, exec_lo, s5
	s_cbranch_execz .LBB63_2
; %bb.17:                               ;   in Loop: Header=BB63_4 Depth=1
	v_add_co_u32 v18, vcc_lo, v11, v8
	s_wait_alu 0xfffd
	v_add_co_ci_u32_e64 v19, null, v13, v9, vcc_lo
	ds_load_b64 v[22:23], v14 offset:8
	flat_load_b64 v[20:21], v[18:19]
	s_wait_dscnt 0x1
	v_mul_f32_e32 v11, v12, v23
	v_mul_f32_e32 v13, v10, v23
	s_delay_alu instid0(VALU_DEP_2) | instskip(NEXT) | instid1(VALU_DEP_2)
	v_fmac_f32_e32 v11, v10, v22
	v_fma_f32 v12, v12, v22, -v13
	s_wait_loadcnt_dscnt 0x0
	s_delay_alu instid0(VALU_DEP_2) | instskip(NEXT) | instid1(VALU_DEP_2)
	v_add_f32_e32 v10, v20, v11
	v_add_f32_e32 v11, v12, v21
	flat_store_b64 v[18:19], v[10:11]
	s_branch .LBB63_2
.LBB63_18:
	s_endpgm
	.section	.rodata,"a",@progbits
	.p2align	6, 0x0
	.amdhsa_kernel _ZL18rocblas_ger_kernelILi32ELi32ELi2ELb1E19rocblas_complex_numIfEPKS1_PKS3_PKPS1_EviiT4_lT5_lllSA_lllT6_lmli
		.amdhsa_group_segment_fixed_size 768
		.amdhsa_private_segment_fixed_size 0
		.amdhsa_kernarg_size 124
		.amdhsa_user_sgpr_count 2
		.amdhsa_user_sgpr_dispatch_ptr 0
		.amdhsa_user_sgpr_queue_ptr 0
		.amdhsa_user_sgpr_kernarg_segment_ptr 1
		.amdhsa_user_sgpr_dispatch_id 0
		.amdhsa_user_sgpr_private_segment_size 0
		.amdhsa_wavefront_size32 1
		.amdhsa_uses_dynamic_stack 0
		.amdhsa_enable_private_segment 0
		.amdhsa_system_sgpr_workgroup_id_x 1
		.amdhsa_system_sgpr_workgroup_id_y 0
		.amdhsa_system_sgpr_workgroup_id_z 1
		.amdhsa_system_sgpr_workgroup_info 0
		.amdhsa_system_vgpr_workitem_id 1
		.amdhsa_next_free_vgpr 25
		.amdhsa_next_free_sgpr 36
		.amdhsa_reserve_vcc 1
		.amdhsa_float_round_mode_32 0
		.amdhsa_float_round_mode_16_64 0
		.amdhsa_float_denorm_mode_32 3
		.amdhsa_float_denorm_mode_16_64 3
		.amdhsa_fp16_overflow 0
		.amdhsa_workgroup_processor_mode 1
		.amdhsa_memory_ordered 1
		.amdhsa_forward_progress 1
		.amdhsa_inst_pref_size 10
		.amdhsa_round_robin_scheduling 0
		.amdhsa_exception_fp_ieee_invalid_op 0
		.amdhsa_exception_fp_denorm_src 0
		.amdhsa_exception_fp_ieee_div_zero 0
		.amdhsa_exception_fp_ieee_overflow 0
		.amdhsa_exception_fp_ieee_underflow 0
		.amdhsa_exception_fp_ieee_inexact 0
		.amdhsa_exception_int_div_zero 0
	.end_amdhsa_kernel
	.section	.text._ZL18rocblas_ger_kernelILi32ELi32ELi2ELb1E19rocblas_complex_numIfEPKS1_PKS3_PKPS1_EviiT4_lT5_lllSA_lllT6_lmli,"axG",@progbits,_ZL18rocblas_ger_kernelILi32ELi32ELi2ELb1E19rocblas_complex_numIfEPKS1_PKS3_PKPS1_EviiT4_lT5_lllSA_lllT6_lmli,comdat
.Lfunc_end63:
	.size	_ZL18rocblas_ger_kernelILi32ELi32ELi2ELb1E19rocblas_complex_numIfEPKS1_PKS3_PKPS1_EviiT4_lT5_lllSA_lllT6_lmli, .Lfunc_end63-_ZL18rocblas_ger_kernelILi32ELi32ELi2ELb1E19rocblas_complex_numIfEPKS1_PKS3_PKPS1_EviiT4_lT5_lllSA_lllT6_lmli
                                        ; -- End function
	.set _ZL18rocblas_ger_kernelILi32ELi32ELi2ELb1E19rocblas_complex_numIfEPKS1_PKS3_PKPS1_EviiT4_lT5_lllSA_lllT6_lmli.num_vgpr, 25
	.set _ZL18rocblas_ger_kernelILi32ELi32ELi2ELb1E19rocblas_complex_numIfEPKS1_PKS3_PKPS1_EviiT4_lT5_lllSA_lllT6_lmli.num_agpr, 0
	.set _ZL18rocblas_ger_kernelILi32ELi32ELi2ELb1E19rocblas_complex_numIfEPKS1_PKS3_PKPS1_EviiT4_lT5_lllSA_lllT6_lmli.numbered_sgpr, 36
	.set _ZL18rocblas_ger_kernelILi32ELi32ELi2ELb1E19rocblas_complex_numIfEPKS1_PKS3_PKPS1_EviiT4_lT5_lllSA_lllT6_lmli.num_named_barrier, 0
	.set _ZL18rocblas_ger_kernelILi32ELi32ELi2ELb1E19rocblas_complex_numIfEPKS1_PKS3_PKPS1_EviiT4_lT5_lllSA_lllT6_lmli.private_seg_size, 0
	.set _ZL18rocblas_ger_kernelILi32ELi32ELi2ELb1E19rocblas_complex_numIfEPKS1_PKS3_PKPS1_EviiT4_lT5_lllSA_lllT6_lmli.uses_vcc, 1
	.set _ZL18rocblas_ger_kernelILi32ELi32ELi2ELb1E19rocblas_complex_numIfEPKS1_PKS3_PKPS1_EviiT4_lT5_lllSA_lllT6_lmli.uses_flat_scratch, 0
	.set _ZL18rocblas_ger_kernelILi32ELi32ELi2ELb1E19rocblas_complex_numIfEPKS1_PKS3_PKPS1_EviiT4_lT5_lllSA_lllT6_lmli.has_dyn_sized_stack, 0
	.set _ZL18rocblas_ger_kernelILi32ELi32ELi2ELb1E19rocblas_complex_numIfEPKS1_PKS3_PKPS1_EviiT4_lT5_lllSA_lllT6_lmli.has_recursion, 0
	.set _ZL18rocblas_ger_kernelILi32ELi32ELi2ELb1E19rocblas_complex_numIfEPKS1_PKS3_PKPS1_EviiT4_lT5_lllSA_lllT6_lmli.has_indirect_call, 0
	.section	.AMDGPU.csdata,"",@progbits
; Kernel info:
; codeLenInByte = 1168
; TotalNumSgprs: 38
; NumVgprs: 25
; ScratchSize: 0
; MemoryBound: 0
; FloatMode: 240
; IeeeMode: 1
; LDSByteSize: 768 bytes/workgroup (compile time only)
; SGPRBlocks: 0
; VGPRBlocks: 3
; NumSGPRsForWavesPerEU: 38
; NumVGPRsForWavesPerEU: 25
; Occupancy: 16
; WaveLimiterHint : 1
; COMPUTE_PGM_RSRC2:SCRATCH_EN: 0
; COMPUTE_PGM_RSRC2:USER_SGPR: 2
; COMPUTE_PGM_RSRC2:TRAP_HANDLER: 0
; COMPUTE_PGM_RSRC2:TGID_X_EN: 1
; COMPUTE_PGM_RSRC2:TGID_Y_EN: 0
; COMPUTE_PGM_RSRC2:TGID_Z_EN: 1
; COMPUTE_PGM_RSRC2:TIDIG_COMP_CNT: 1
	.section	.text._ZL18rocblas_ger_kernelILi32ELi32ELi2ELb1E19rocblas_complex_numIfES1_PKPKS1_PKPS1_EviiT4_lT5_lllSA_lllT6_lmli,"axG",@progbits,_ZL18rocblas_ger_kernelILi32ELi32ELi2ELb1E19rocblas_complex_numIfES1_PKPKS1_PKPS1_EviiT4_lT5_lllSA_lllT6_lmli,comdat
	.globl	_ZL18rocblas_ger_kernelILi32ELi32ELi2ELb1E19rocblas_complex_numIfES1_PKPKS1_PKPS1_EviiT4_lT5_lllSA_lllT6_lmli ; -- Begin function _ZL18rocblas_ger_kernelILi32ELi32ELi2ELb1E19rocblas_complex_numIfES1_PKPKS1_PKPS1_EviiT4_lT5_lllSA_lllT6_lmli
	.p2align	8
	.type	_ZL18rocblas_ger_kernelILi32ELi32ELi2ELb1E19rocblas_complex_numIfES1_PKPKS1_PKPS1_EviiT4_lT5_lllSA_lllT6_lmli,@function
_ZL18rocblas_ger_kernelILi32ELi32ELi2ELb1E19rocblas_complex_numIfES1_PKPKS1_PKPS1_EviiT4_lT5_lllSA_lllT6_lmli: ; @_ZL18rocblas_ger_kernelILi32ELi32ELi2ELb1E19rocblas_complex_numIfES1_PKPKS1_PKPS1_EviiT4_lT5_lllSA_lllT6_lmli
; %bb.0:
	s_load_b32 s28, s[0:1], 0x78
	s_lshr_b32 s20, ttmp7, 16
	s_wait_kmcnt 0x0
	s_cmp_ge_u32 s20, s28
	s_cbranch_scc1 .LBB64_18
; %bb.1:
	s_load_b128 s[4:7], s[0:1], 0x0
	v_and_b32_e32 v2, 0x3ff, v0
	s_wait_kmcnt 0x0
	s_add_co_i32 s2, s4, -1
	s_delay_alu instid0(SALU_CYCLE_1) | instskip(NEXT) | instid1(SALU_CYCLE_1)
	s_ashr_i32 s3, s2, 31
	s_lshr_b32 s3, s3, 27
	s_delay_alu instid0(SALU_CYCLE_1) | instskip(NEXT) | instid1(SALU_CYCLE_1)
	s_add_co_i32 s2, s2, s3
	s_ashr_i32 s2, s2, 5
	s_delay_alu instid0(SALU_CYCLE_1) | instskip(NEXT) | instid1(SALU_CYCLE_1)
	s_add_co_i32 s3, s2, 1
	s_cvt_f32_u32 s8, s3
	s_delay_alu instid0(SALU_CYCLE_3) | instskip(SKIP_4) | instid1(TRANS32_DEP_1)
	v_rcp_iflag_f32_e32 v1, s8
	s_clause 0x2
	s_load_b64 s[22:23], s[0:1], 0x18
	s_load_b64 s[24:25], s[0:1], 0x38
	s_load_b128 s[8:11], s[0:1], 0x20
	v_readfirstlane_b32 s12, v1
	v_bfe_u32 v1, v0, 10, 10
	s_mul_f32 s21, s12, 0x4f7ffffe
	s_clause 0x2
	s_load_b64 s[26:27], s[0:1], 0x58
	s_load_b128 s[12:15], s[0:1], 0x40
	s_load_b128 s[16:19], s[0:1], 0x60
	s_not_b32 s0, s2
	v_lshlrev_b32_e32 v0, 1, v1
	s_cvt_u32_f32 s1, s21
	v_lshlrev_b32_e32 v12, 4, v1
	s_mov_b32 s21, 0
	s_delay_alu instid0(SALU_CYCLE_1) | instskip(NEXT) | instid1(SALU_CYCLE_1)
	s_mul_i32 s0, s0, s1
	s_mul_hi_u32 s2, s1, s0
	v_cmp_eq_u32_e64 s0, 0, v1
	s_add_co_i32 s1, s1, s2
	s_delay_alu instid0(SALU_CYCLE_1) | instskip(NEXT) | instid1(SALU_CYCLE_1)
	s_mul_hi_u32 s2, ttmp9, s1
	s_mul_i32 s29, s2, s3
	s_add_co_i32 s30, s2, 1
	s_sub_co_i32 s29, ttmp9, s29
	s_delay_alu instid0(SALU_CYCLE_1)
	s_sub_co_i32 s31, s29, s3
	s_cmp_ge_u32 s29, s3
	s_cselect_b32 s2, s30, s2
	s_cselect_b32 s29, s31, s29
	s_add_co_i32 s30, s2, 1
	s_cmp_ge_u32 s29, s3
	s_cselect_b32 s2, s30, s2
	s_or_b32 s29, s6, s7
	v_lshl_add_u32 v15, s2, 6, v0
	s_mul_i32 s2, s2, s3
	s_bitset0_b32 s29, 31
	s_wait_alu 0xfffe
	s_sub_co_i32 s2, ttmp9, s2
	s_cmp_lg_u32 s29, 0
	v_or_b32_e32 v16, v15, v2
	s_wait_alu 0xfffe
	v_lshl_add_u32 v0, s2, 5, v2
	v_ashrrev_i32_e32 v4, 31, v15
	v_or_b32_e32 v18, 1, v15
	s_wait_kmcnt 0x0
	v_mul_lo_u32 v17, s19, v15
	v_mad_co_u64_u32 v[8:9], null, s14, v16, 0
	v_ashrrev_i32_e32 v1, 31, v0
	v_mul_lo_u32 v20, s18, v4
	v_mul_lo_u32 v19, s11, v0
	v_mad_co_u64_u32 v[6:7], null, s10, v0, 0
	v_mul_lo_u32 v21, s19, v18
	v_mov_b32_e32 v4, v9
	v_mul_lo_u32 v9, s10, v1
	v_mad_co_u64_u32 v[10:11], null, s18, v18, 0
	v_cmp_gt_i32_e64 s3, s4, v0
	s_delay_alu instid0(VALU_DEP_4)
	v_mad_co_u64_u32 v[4:5], null, s15, v16, v[4:5]
	v_lshlrev_b64_e32 v[0:1], 3, v[0:1]
	v_cmp_gt_i32_e64 s2, s5, v15
	v_add3_u32 v7, v7, v9, v19
	v_add3_u32 v11, v11, v20, v21
	v_cmp_gt_u32_e64 s4, s5, v16
	v_cmp_gt_i32_e64 s5, s5, v18
	v_mov_b32_e32 v9, v4
	v_lshlrev_b32_e32 v3, 3, v2
	v_cmp_gt_u32_e64 s1, 2, v2
	v_lshlrev_b64_e32 v[4:5], 3, v[10:11]
	v_lshlrev_b64_e32 v[6:7], 3, v[6:7]
	;; [unrolled: 1-line block ×3, first 2 shown]
	v_add_nc_u32_e32 v13, 0x200, v3
	v_add_nc_u32_e32 v14, v12, v3
	v_mad_co_u64_u32 v[2:3], null, s18, v15, 0
	s_cselect_b32 s29, -1, 0
	s_lshl_b64 s[8:9], s[8:9], 3
	s_lshl_b64 s[10:11], s[12:13], 3
	;; [unrolled: 1-line block ×3, first 2 shown]
	v_add3_u32 v3, v3, v20, v17
	s_delay_alu instid0(VALU_DEP_1)
	v_lshlrev_b64_e32 v[2:3], 3, v[2:3]
	s_branch .LBB64_4
.LBB64_2:                               ;   in Loop: Header=BB64_4 Depth=1
	s_wait_alu 0xfffe
	s_or_b32 exec_lo, exec_lo, s16
.LBB64_3:                               ;   in Loop: Header=BB64_4 Depth=1
	s_add_co_i32 s20, s20, 0x10000
	s_delay_alu instid0(SALU_CYCLE_1)
	s_cmp_lt_u32 s20, s28
	s_cbranch_scc0 .LBB64_18
.LBB64_4:                               ; =>This Inner Loop Header: Depth=1
	s_and_not1_b32 vcc_lo, exec_lo, s29
	s_wait_alu 0xfffe
	s_cbranch_vccnz .LBB64_3
; %bb.5:                                ;   in Loop: Header=BB64_4 Depth=1
	s_lshl_b64 s[18:19], s[20:21], 3
	s_wait_alu 0xfffe
	s_add_nc_u64 s[14:15], s[24:25], s[18:19]
	s_add_nc_u64 s[30:31], s[26:27], s[18:19]
	s_load_b64 s[16:17], s[14:15], 0x0
	s_load_b64 s[14:15], s[30:31], 0x0
	s_and_saveexec_b32 s30, s0
	s_cbranch_execz .LBB64_9
; %bb.6:                                ;   in Loop: Header=BB64_4 Depth=1
	v_dual_mov_b32 v10, 0 :: v_dual_mov_b32 v11, 0
	s_and_saveexec_b32 s31, s3
	s_cbranch_execz .LBB64_8
; %bb.7:                                ;   in Loop: Header=BB64_4 Depth=1
	s_add_nc_u64 s[18:19], s[22:23], s[18:19]
	s_load_b64 s[18:19], s[18:19], 0x0
	s_wait_kmcnt 0x0
	s_add_nc_u64 s[18:19], s[18:19], s[8:9]
	s_wait_alu 0xfffe
	v_add_co_u32 v10, vcc_lo, s18, v6
	s_wait_alu 0xfffd
	v_add_co_ci_u32_e64 v11, null, s19, v7, vcc_lo
	flat_load_b64 v[10:11], v[10:11]
.LBB64_8:                               ;   in Loop: Header=BB64_4 Depth=1
	s_or_b32 exec_lo, exec_lo, s31
	s_wait_loadcnt_dscnt 0x0
	ds_store_b64 v13, v[10:11]
.LBB64_9:                               ;   in Loop: Header=BB64_4 Depth=1
	s_or_b32 exec_lo, exec_lo, s30
	s_and_saveexec_b32 s18, s1
	s_cbranch_execz .LBB64_13
; %bb.10:                               ;   in Loop: Header=BB64_4 Depth=1
	v_dual_mov_b32 v10, 0 :: v_dual_mov_b32 v11, 0
	s_and_saveexec_b32 s19, s4
	s_cbranch_execz .LBB64_12
; %bb.11:                               ;   in Loop: Header=BB64_4 Depth=1
	s_wait_kmcnt 0x0
	s_add_nc_u64 s[16:17], s[16:17], s[10:11]
	s_wait_alu 0xfffe
	v_add_co_u32 v10, vcc_lo, s16, v8
	s_wait_alu 0xfffd
	v_add_co_ci_u32_e64 v11, null, s17, v9, vcc_lo
	flat_load_b64 v[10:11], v[10:11]
.LBB64_12:                              ;   in Loop: Header=BB64_4 Depth=1
	s_wait_alu 0xfffe
	s_or_b32 exec_lo, exec_lo, s19
	s_wait_loadcnt_dscnt 0x0
	ds_store_b64 v14, v[10:11]
.LBB64_13:                              ;   in Loop: Header=BB64_4 Depth=1
	s_wait_alu 0xfffe
	s_or_b32 exec_lo, exec_lo, s18
	s_wait_dscnt 0x0
	s_barrier_signal -1
	s_barrier_wait -1
	global_inv scope:SCOPE_SE
	s_wait_kmcnt 0x0
	s_and_saveexec_b32 s16, s3
	s_cbranch_execz .LBB64_2
; %bb.14:                               ;   in Loop: Header=BB64_4 Depth=1
	ds_load_b64 v[15:16], v13
	s_add_nc_u64 s[14:15], s[14:15], s[12:13]
	s_wait_dscnt 0x0
	v_mul_f32_e32 v10, s6, v16
	s_delay_alu instid0(VALU_DEP_1) | instskip(NEXT) | instid1(VALU_DEP_1)
	v_dual_mul_f32 v11, s7, v16 :: v_dual_fmac_f32 v10, s7, v15
	v_fma_f32 v11, v15, s6, -v11
	s_wait_alu 0xfffe
	v_add_co_u32 v15, vcc_lo, s14, v0
	s_wait_alu 0xfffd
	v_add_co_ci_u32_e64 v16, null, s15, v1, vcc_lo
	s_and_saveexec_b32 s14, s2
	s_cbranch_execz .LBB64_16
; %bb.15:                               ;   in Loop: Header=BB64_4 Depth=1
	v_add_co_u32 v17, vcc_lo, v15, v2
	s_wait_alu 0xfffd
	v_add_co_ci_u32_e64 v18, null, v16, v3, vcc_lo
	ds_load_b64 v[21:22], v12
	flat_load_b64 v[19:20], v[17:18]
	s_wait_dscnt 0x1
	v_mul_f32_e32 v23, v10, v22
	v_mul_f32_e32 v22, v11, v22
	s_delay_alu instid0(VALU_DEP_2) | instskip(NEXT) | instid1(VALU_DEP_2)
	v_fmac_f32_e32 v23, v11, v21
	v_fma_f32 v21, v10, v21, -v22
	s_wait_loadcnt_dscnt 0x0
	s_delay_alu instid0(VALU_DEP_1)
	v_dual_add_f32 v19, v19, v23 :: v_dual_add_f32 v20, v21, v20
	flat_store_b64 v[17:18], v[19:20]
.LBB64_16:                              ;   in Loop: Header=BB64_4 Depth=1
	s_wait_alu 0xfffe
	s_or_b32 exec_lo, exec_lo, s14
	s_delay_alu instid0(SALU_CYCLE_1)
	s_and_b32 exec_lo, exec_lo, s5
	s_cbranch_execz .LBB64_2
; %bb.17:                               ;   in Loop: Header=BB64_4 Depth=1
	v_add_co_u32 v15, vcc_lo, v15, v4
	s_wait_alu 0xfffd
	v_add_co_ci_u32_e64 v16, null, v16, v5, vcc_lo
	ds_load_b64 v[19:20], v12 offset:8
	flat_load_b64 v[17:18], v[15:16]
	s_wait_dscnt 0x1
	v_mul_f32_e32 v21, v10, v20
	v_mul_f32_e32 v20, v11, v20
	s_delay_alu instid0(VALU_DEP_2) | instskip(NEXT) | instid1(VALU_DEP_2)
	v_fmac_f32_e32 v21, v11, v19
	v_fma_f32 v11, v10, v19, -v20
	s_wait_loadcnt_dscnt 0x0
	s_delay_alu instid0(VALU_DEP_1)
	v_dual_add_f32 v10, v17, v21 :: v_dual_add_f32 v11, v11, v18
	flat_store_b64 v[15:16], v[10:11]
	s_branch .LBB64_2
.LBB64_18:
	s_endpgm
	.section	.rodata,"a",@progbits
	.p2align	6, 0x0
	.amdhsa_kernel _ZL18rocblas_ger_kernelILi32ELi32ELi2ELb1E19rocblas_complex_numIfES1_PKPKS1_PKPS1_EviiT4_lT5_lllSA_lllT6_lmli
		.amdhsa_group_segment_fixed_size 768
		.amdhsa_private_segment_fixed_size 0
		.amdhsa_kernarg_size 124
		.amdhsa_user_sgpr_count 2
		.amdhsa_user_sgpr_dispatch_ptr 0
		.amdhsa_user_sgpr_queue_ptr 0
		.amdhsa_user_sgpr_kernarg_segment_ptr 1
		.amdhsa_user_sgpr_dispatch_id 0
		.amdhsa_user_sgpr_private_segment_size 0
		.amdhsa_wavefront_size32 1
		.amdhsa_uses_dynamic_stack 0
		.amdhsa_enable_private_segment 0
		.amdhsa_system_sgpr_workgroup_id_x 1
		.amdhsa_system_sgpr_workgroup_id_y 0
		.amdhsa_system_sgpr_workgroup_id_z 1
		.amdhsa_system_sgpr_workgroup_info 0
		.amdhsa_system_vgpr_workitem_id 1
		.amdhsa_next_free_vgpr 24
		.amdhsa_next_free_sgpr 32
		.amdhsa_reserve_vcc 1
		.amdhsa_float_round_mode_32 0
		.amdhsa_float_round_mode_16_64 0
		.amdhsa_float_denorm_mode_32 3
		.amdhsa_float_denorm_mode_16_64 3
		.amdhsa_fp16_overflow 0
		.amdhsa_workgroup_processor_mode 1
		.amdhsa_memory_ordered 1
		.amdhsa_forward_progress 1
		.amdhsa_inst_pref_size 9
		.amdhsa_round_robin_scheduling 0
		.amdhsa_exception_fp_ieee_invalid_op 0
		.amdhsa_exception_fp_denorm_src 0
		.amdhsa_exception_fp_ieee_div_zero 0
		.amdhsa_exception_fp_ieee_overflow 0
		.amdhsa_exception_fp_ieee_underflow 0
		.amdhsa_exception_fp_ieee_inexact 0
		.amdhsa_exception_int_div_zero 0
	.end_amdhsa_kernel
	.section	.text._ZL18rocblas_ger_kernelILi32ELi32ELi2ELb1E19rocblas_complex_numIfES1_PKPKS1_PKPS1_EviiT4_lT5_lllSA_lllT6_lmli,"axG",@progbits,_ZL18rocblas_ger_kernelILi32ELi32ELi2ELb1E19rocblas_complex_numIfES1_PKPKS1_PKPS1_EviiT4_lT5_lllSA_lllT6_lmli,comdat
.Lfunc_end64:
	.size	_ZL18rocblas_ger_kernelILi32ELi32ELi2ELb1E19rocblas_complex_numIfES1_PKPKS1_PKPS1_EviiT4_lT5_lllSA_lllT6_lmli, .Lfunc_end64-_ZL18rocblas_ger_kernelILi32ELi32ELi2ELb1E19rocblas_complex_numIfES1_PKPKS1_PKPS1_EviiT4_lT5_lllSA_lllT6_lmli
                                        ; -- End function
	.set _ZL18rocblas_ger_kernelILi32ELi32ELi2ELb1E19rocblas_complex_numIfES1_PKPKS1_PKPS1_EviiT4_lT5_lllSA_lllT6_lmli.num_vgpr, 24
	.set _ZL18rocblas_ger_kernelILi32ELi32ELi2ELb1E19rocblas_complex_numIfES1_PKPKS1_PKPS1_EviiT4_lT5_lllSA_lllT6_lmli.num_agpr, 0
	.set _ZL18rocblas_ger_kernelILi32ELi32ELi2ELb1E19rocblas_complex_numIfES1_PKPKS1_PKPS1_EviiT4_lT5_lllSA_lllT6_lmli.numbered_sgpr, 32
	.set _ZL18rocblas_ger_kernelILi32ELi32ELi2ELb1E19rocblas_complex_numIfES1_PKPKS1_PKPS1_EviiT4_lT5_lllSA_lllT6_lmli.num_named_barrier, 0
	.set _ZL18rocblas_ger_kernelILi32ELi32ELi2ELb1E19rocblas_complex_numIfES1_PKPKS1_PKPS1_EviiT4_lT5_lllSA_lllT6_lmli.private_seg_size, 0
	.set _ZL18rocblas_ger_kernelILi32ELi32ELi2ELb1E19rocblas_complex_numIfES1_PKPKS1_PKPS1_EviiT4_lT5_lllSA_lllT6_lmli.uses_vcc, 1
	.set _ZL18rocblas_ger_kernelILi32ELi32ELi2ELb1E19rocblas_complex_numIfES1_PKPKS1_PKPS1_EviiT4_lT5_lllSA_lllT6_lmli.uses_flat_scratch, 0
	.set _ZL18rocblas_ger_kernelILi32ELi32ELi2ELb1E19rocblas_complex_numIfES1_PKPKS1_PKPS1_EviiT4_lT5_lllSA_lllT6_lmli.has_dyn_sized_stack, 0
	.set _ZL18rocblas_ger_kernelILi32ELi32ELi2ELb1E19rocblas_complex_numIfES1_PKPKS1_PKPS1_EviiT4_lT5_lllSA_lllT6_lmli.has_recursion, 0
	.set _ZL18rocblas_ger_kernelILi32ELi32ELi2ELb1E19rocblas_complex_numIfES1_PKPKS1_PKPS1_EviiT4_lT5_lllSA_lllT6_lmli.has_indirect_call, 0
	.section	.AMDGPU.csdata,"",@progbits
; Kernel info:
; codeLenInByte = 1140
; TotalNumSgprs: 34
; NumVgprs: 24
; ScratchSize: 0
; MemoryBound: 0
; FloatMode: 240
; IeeeMode: 1
; LDSByteSize: 768 bytes/workgroup (compile time only)
; SGPRBlocks: 0
; VGPRBlocks: 2
; NumSGPRsForWavesPerEU: 34
; NumVGPRsForWavesPerEU: 24
; Occupancy: 16
; WaveLimiterHint : 1
; COMPUTE_PGM_RSRC2:SCRATCH_EN: 0
; COMPUTE_PGM_RSRC2:USER_SGPR: 2
; COMPUTE_PGM_RSRC2:TRAP_HANDLER: 0
; COMPUTE_PGM_RSRC2:TGID_X_EN: 1
; COMPUTE_PGM_RSRC2:TGID_Y_EN: 0
; COMPUTE_PGM_RSRC2:TGID_Z_EN: 1
; COMPUTE_PGM_RSRC2:TIDIG_COMP_CNT: 1
	.section	.text._ZL34rocblas_ger_double_buffered_kernelILb1ELi64ELi16ELi2E19rocblas_complex_numIdE24rocblas_internal_val_ptrIS1_EPKPKS1_PKPS1_EvbiiT4_lT5_lllSC_lllT6_lmli,"axG",@progbits,_ZL34rocblas_ger_double_buffered_kernelILb1ELi64ELi16ELi2E19rocblas_complex_numIdE24rocblas_internal_val_ptrIS1_EPKPKS1_PKPS1_EvbiiT4_lT5_lllSC_lllT6_lmli,comdat
	.globl	_ZL34rocblas_ger_double_buffered_kernelILb1ELi64ELi16ELi2E19rocblas_complex_numIdE24rocblas_internal_val_ptrIS1_EPKPKS1_PKPS1_EvbiiT4_lT5_lllSC_lllT6_lmli ; -- Begin function _ZL34rocblas_ger_double_buffered_kernelILb1ELi64ELi16ELi2E19rocblas_complex_numIdE24rocblas_internal_val_ptrIS1_EPKPKS1_PKPS1_EvbiiT4_lT5_lllSC_lllT6_lmli
	.p2align	8
	.type	_ZL34rocblas_ger_double_buffered_kernelILb1ELi64ELi16ELi2E19rocblas_complex_numIdE24rocblas_internal_val_ptrIS1_EPKPKS1_PKPS1_EvbiiT4_lT5_lllSC_lllT6_lmli,@function
_ZL34rocblas_ger_double_buffered_kernelILb1ELi64ELi16ELi2E19rocblas_complex_numIdE24rocblas_internal_val_ptrIS1_EPKPKS1_PKPS1_EvbiiT4_lT5_lllSC_lllT6_lmli: ; @_ZL34rocblas_ger_double_buffered_kernelILb1ELi64ELi16ELi2E19rocblas_complex_numIdE24rocblas_internal_val_ptrIS1_EPKPKS1_PKPS1_EvbiiT4_lT5_lllSC_lllT6_lmli
; %bb.0:
	s_load_b32 s33, s[0:1], 0x88
	s_lshr_b32 s2, ttmp7, 16
	s_wait_kmcnt 0x0
	s_cmp_ge_u32 s2, s33
	s_cbranch_scc1 .LBB65_8
; %bb.1:
	v_lshrrev_b32_e32 v1, 4, v0
	v_and_b32_e32 v2, 0x3ff, v0
	s_clause 0x4
	s_load_b128 s[16:19], s[0:1], 0x70
	s_load_b64 s[24:25], s[0:1], 0x68
	s_load_b64 s[26:27], s[0:1], 0x48
	s_load_b128 s[20:23], s[0:1], 0x50
	s_load_b256 s[4:11], s[0:1], 0x20
	v_and_b32_e32 v1, 0xffc0, v1
	s_clause 0x1
	s_load_b32 s28, s[0:1], 0x0
	s_load_b128 s[12:15], s[0:1], 0x10
	s_mov_b32 s3, 0
	s_delay_alu instid0(SALU_CYCLE_1) | instskip(SKIP_1) | instid1(VALU_DEP_1)
	s_mov_b32 s1, s3
	v_add_nc_u32_e32 v1, v1, v2
	v_lshrrev_b32_e32 v4, 4, v1
	s_delay_alu instid0(VALU_DEP_1) | instskip(SKIP_3) | instid1(VALU_DEP_2)
	v_or_b32_e32 v18, 1, v4
	v_and_b32_e32 v15, 0x1ffe, v4
	s_wait_kmcnt 0x0
	s_bitcmp1_b32 s28, 0
	v_mad_co_u64_u32 v[12:13], null, s22, v18, 0
	v_and_b32_e32 v17, 31, v0
	v_mad_co_u64_u32 v[8:9], null, s18, v15, 0
	v_mad_co_u64_u32 v[10:11], null, s22, v15, 0
	s_delay_alu instid0(VALU_DEP_3)
	v_or_b32_e32 v7, 32, v17
	v_mad_co_u64_u32 v[0:1], null, s10, v17, 0
	s_cselect_b32 s38, -1, 0
	v_mov_b32_e32 v4, v9
	v_mad_co_u64_u32 v[2:3], null, s10, v7, 0
	s_and_b32 s0, ttmp7, 0xffff
	s_lshl_b32 s28, ttmp9, 6
	v_mad_co_u64_u32 v[4:5], null, s19, v15, v[4:5]
	s_lshl_b32 s0, s0, 6
	s_ashr_i32 s29, s28, 31
	v_mad_co_u64_u32 v[5:6], null, s11, v17, v[1:2]
	v_dual_mov_b32 v1, v11 :: v_dual_mov_b32 v6, v13
	v_mad_co_u64_u32 v[13:14], null, s11, v7, v[3:4]
	s_mul_u64 s[30:31], s[18:19], s[0:1]
	v_mad_co_u64_u32 v[15:16], null, s23, v15, v[1:2]
	v_mad_co_u64_u32 v[6:7], null, s23, v18, v[6:7]
	s_mul_u64 s[36:37], s[22:23], s[0:1]
	s_xor_b32 s0, s38, -1
	v_mov_b32_e32 v9, v4
	v_cndmask_b32_e64 v4, 0, 1, s0
	v_mov_b32_e32 v1, v5
	v_mov_b32_e32 v3, v13
	;; [unrolled: 1-line block ×4, first 2 shown]
	v_cmp_ne_u32_e64 s0, 1, v4
	v_lshlrev_b64_e32 v[4:5], 4, v[0:1]
	v_lshlrev_b64_e32 v[6:7], 4, v[2:3]
	;; [unrolled: 1-line block ×5, first 2 shown]
	v_dual_mov_b32 v14, 0 :: v_dual_lshlrev_b32 v15, 4, v17
	s_mul_u64 s[34:35], s[10:11], s[28:29]
	s_lshl_b64 s[10:11], s[16:17], 4
	s_lshl_b64 s[16:17], s[20:21], 4
	;; [unrolled: 1-line block ×8, first 2 shown]
	s_branch .LBB65_3
.LBB65_2:                               ;   in Loop: Header=BB65_3 Depth=1
	s_add_co_i32 s2, s2, 0x10000
	s_delay_alu instid0(SALU_CYCLE_1)
	s_cmp_lt_u32 s2, s33
	s_cbranch_scc0 .LBB65_8
.LBB65_3:                               ; =>This Inner Loop Header: Depth=1
	s_and_b32 vcc_lo, exec_lo, s0
	s_wait_alu 0xfffe
	s_cbranch_vccnz .LBB65_5
; %bb.4:                                ;   in Loop: Header=BB65_3 Depth=1
	s_mul_u64 s[34:35], s[4:5], s[2:3]
	s_wait_alu 0xfffe
	s_lshl_b64 s[34:35], s[34:35], 4
	s_wait_alu 0xfffe
	s_add_nc_u64 s[34:35], s[12:13], s[34:35]
	global_load_b128 v[0:3], v14, s[34:35]
	s_branch .LBB65_6
.LBB65_5:                               ;   in Loop: Header=BB65_3 Depth=1
	v_dual_mov_b32 v2, s14 :: v_dual_mov_b32 v3, s15
	v_dual_mov_b32 v0, s12 :: v_dual_mov_b32 v1, s13
.LBB65_6:                               ;   in Loop: Header=BB65_3 Depth=1
	s_wait_loadcnt 0x0
	s_delay_alu instid0(VALU_DEP_1) | instskip(NEXT) | instid1(VALU_DEP_3)
	v_cmp_neq_f64_e32 vcc_lo, 0, v[0:1]
	v_cmp_neq_f64_e64 s1, 0, v[2:3]
	s_or_b32 s1, vcc_lo, s1
	s_wait_alu 0xfffe
	s_and_not1_b32 vcc_lo, exec_lo, s1
	s_wait_alu 0xfffe
	s_cbranch_vccnz .LBB65_2
; %bb.7:                                ;   in Loop: Header=BB65_3 Depth=1
	s_lshl_b64 s[34:35], s[2:3], 3
	s_wait_alu 0xfffe
	s_add_nc_u64 s[36:37], s[6:7], s[34:35]
	s_load_b64 s[36:37], s[36:37], 0x0
	s_wait_kmcnt 0x0
	s_add_nc_u64 s[36:37], s[36:37], s[8:9]
	s_wait_alu 0xfffe
	s_add_nc_u64 s[36:37], s[36:37], s[28:29]
	s_wait_alu 0xfffe
	v_add_co_u32 v16, vcc_lo, s36, v4
	s_wait_alu 0xfffd
	v_add_co_ci_u32_e64 v17, null, s37, v5, vcc_lo
	v_add_co_u32 v20, vcc_lo, s36, v6
	s_wait_alu 0xfffd
	v_add_co_ci_u32_e64 v21, null, s37, v7, vcc_lo
	s_clause 0x1
	flat_load_b128 v[16:19], v[16:17]
	flat_load_b128 v[20:23], v[20:21]
	s_add_nc_u64 s[36:37], s[26:27], s[34:35]
	s_add_nc_u64 s[34:35], s[24:25], s[34:35]
	s_load_b64 s[36:37], s[36:37], 0x0
	s_wait_kmcnt 0x0
	s_add_nc_u64 s[36:37], s[36:37], s[16:17]
	s_wait_alu 0xfffe
	s_add_nc_u64 s[36:37], s[36:37], s[30:31]
	s_wait_alu 0xfffe
	v_add_co_u32 v24, vcc_lo, s36, v10
	s_wait_alu 0xfffd
	v_add_co_ci_u32_e64 v25, null, s37, v11, vcc_lo
	v_add_co_u32 v28, vcc_lo, s36, v12
	s_wait_alu 0xfffd
	v_add_co_ci_u32_e64 v29, null, s37, v13, vcc_lo
	s_clause 0x1
	flat_load_b128 v[24:27], v[24:25]
	flat_load_b128 v[28:31], v[28:29]
	s_load_b64 s[34:35], s[34:35], 0x0
	s_wait_kmcnt 0x0
	s_add_nc_u64 s[34:35], s[34:35], s[10:11]
	s_wait_alu 0xfffe
	s_add_nc_u64 s[34:35], s[34:35], s[20:21]
	s_wait_alu 0xfffe
	;; [unrolled: 2-line block ×3, first 2 shown]
	v_add_co_u32 v32, vcc_lo, s34, v8
	s_wait_alu 0xfffd
	v_add_co_ci_u32_e64 v33, null, s35, v9, vcc_lo
	s_delay_alu instid0(VALU_DEP_2) | instskip(SKIP_1) | instid1(VALU_DEP_2)
	v_add_co_u32 v48, vcc_lo, v32, v15
	s_wait_alu 0xfffd
	v_add_co_ci_u32_e64 v49, null, 0, v33, vcc_lo
	s_delay_alu instid0(VALU_DEP_2) | instskip(SKIP_1) | instid1(VALU_DEP_2)
	v_add_co_u32 v50, vcc_lo, v48, s18
	s_wait_alu 0xfffd
	v_add_co_ci_u32_e64 v51, null, s19, v49, vcc_lo
	s_clause 0x3
	flat_load_b128 v[32:35], v[48:49]
	flat_load_b128 v[36:39], v[50:51]
	flat_load_b128 v[40:43], v[48:49] offset:512
	flat_load_b128 v[44:47], v[50:51] offset:512
	s_wait_loadcnt_dscnt 0x707
	v_mul_f64_e32 v[52:53], v[0:1], v[18:19]
	v_mul_f64_e32 v[18:19], v[2:3], v[18:19]
	s_wait_loadcnt_dscnt 0x606
	v_mul_f64_e32 v[54:55], v[0:1], v[22:23]
	v_mul_f64_e32 v[22:23], v[2:3], v[22:23]
	s_delay_alu instid0(VALU_DEP_4) | instskip(NEXT) | instid1(VALU_DEP_4)
	v_fma_f64 v[52:53], v[2:3], v[16:17], v[52:53]
	v_fma_f64 v[16:17], v[0:1], v[16:17], -v[18:19]
	s_delay_alu instid0(VALU_DEP_4) | instskip(NEXT) | instid1(VALU_DEP_4)
	v_fma_f64 v[2:3], v[2:3], v[20:21], v[54:55]
	v_fma_f64 v[0:1], v[0:1], v[20:21], -v[22:23]
	s_wait_loadcnt_dscnt 0x505
	s_delay_alu instid0(VALU_DEP_4) | instskip(NEXT) | instid1(VALU_DEP_4)
	v_mul_f64_e32 v[18:19], v[52:53], v[26:27]
	v_mul_f64_e32 v[20:21], v[16:17], v[26:27]
	s_wait_loadcnt_dscnt 0x404
	v_mul_f64_e32 v[22:23], v[52:53], v[30:31]
	v_mul_f64_e32 v[54:55], v[16:17], v[30:31]
	;; [unrolled: 1-line block ×6, first 2 shown]
	v_fma_f64 v[18:19], v[16:17], v[24:25], v[18:19]
	v_fma_f64 v[20:21], v[52:53], v[24:25], -v[20:21]
	v_fma_f64 v[16:17], v[16:17], v[28:29], v[22:23]
	v_fma_f64 v[22:23], v[52:53], v[28:29], -v[54:55]
	v_fma_f64 v[52:53], v[0:1], v[24:25], v[56:57]
	v_fma_f64 v[24:25], v[2:3], v[24:25], -v[26:27]
	v_fma_f64 v[26:27], v[0:1], v[28:29], v[58:59]
	v_fma_f64 v[28:29], v[2:3], v[28:29], -v[30:31]
	s_wait_loadcnt_dscnt 0x303
	v_add_f64_e32 v[0:1], v[32:33], v[18:19]
	v_add_f64_e32 v[2:3], v[20:21], v[34:35]
	s_wait_loadcnt_dscnt 0x202
	v_add_f64_e32 v[16:17], v[36:37], v[16:17]
	v_add_f64_e32 v[18:19], v[22:23], v[38:39]
	;; [unrolled: 3-line block ×4, first 2 shown]
	s_clause 0x3
	flat_store_b128 v[48:49], v[0:3]
	flat_store_b128 v[50:51], v[16:19]
	flat_store_b128 v[48:49], v[20:23] offset:512
	flat_store_b128 v[50:51], v[24:27] offset:512
	s_branch .LBB65_2
.LBB65_8:
	s_endpgm
	.section	.rodata,"a",@progbits
	.p2align	6, 0x0
	.amdhsa_kernel _ZL34rocblas_ger_double_buffered_kernelILb1ELi64ELi16ELi2E19rocblas_complex_numIdE24rocblas_internal_val_ptrIS1_EPKPKS1_PKPS1_EvbiiT4_lT5_lllSC_lllT6_lmli
		.amdhsa_group_segment_fixed_size 0
		.amdhsa_private_segment_fixed_size 0
		.amdhsa_kernarg_size 140
		.amdhsa_user_sgpr_count 2
		.amdhsa_user_sgpr_dispatch_ptr 0
		.amdhsa_user_sgpr_queue_ptr 0
		.amdhsa_user_sgpr_kernarg_segment_ptr 1
		.amdhsa_user_sgpr_dispatch_id 0
		.amdhsa_user_sgpr_private_segment_size 0
		.amdhsa_wavefront_size32 1
		.amdhsa_uses_dynamic_stack 0
		.amdhsa_enable_private_segment 0
		.amdhsa_system_sgpr_workgroup_id_x 1
		.amdhsa_system_sgpr_workgroup_id_y 1
		.amdhsa_system_sgpr_workgroup_id_z 1
		.amdhsa_system_sgpr_workgroup_info 0
		.amdhsa_system_vgpr_workitem_id 1
		.amdhsa_next_free_vgpr 60
		.amdhsa_next_free_sgpr 39
		.amdhsa_reserve_vcc 1
		.amdhsa_float_round_mode_32 0
		.amdhsa_float_round_mode_16_64 0
		.amdhsa_float_denorm_mode_32 3
		.amdhsa_float_denorm_mode_16_64 3
		.amdhsa_fp16_overflow 0
		.amdhsa_workgroup_processor_mode 1
		.amdhsa_memory_ordered 1
		.amdhsa_forward_progress 1
		.amdhsa_inst_pref_size 10
		.amdhsa_round_robin_scheduling 0
		.amdhsa_exception_fp_ieee_invalid_op 0
		.amdhsa_exception_fp_denorm_src 0
		.amdhsa_exception_fp_ieee_div_zero 0
		.amdhsa_exception_fp_ieee_overflow 0
		.amdhsa_exception_fp_ieee_underflow 0
		.amdhsa_exception_fp_ieee_inexact 0
		.amdhsa_exception_int_div_zero 0
	.end_amdhsa_kernel
	.section	.text._ZL34rocblas_ger_double_buffered_kernelILb1ELi64ELi16ELi2E19rocblas_complex_numIdE24rocblas_internal_val_ptrIS1_EPKPKS1_PKPS1_EvbiiT4_lT5_lllSC_lllT6_lmli,"axG",@progbits,_ZL34rocblas_ger_double_buffered_kernelILb1ELi64ELi16ELi2E19rocblas_complex_numIdE24rocblas_internal_val_ptrIS1_EPKPKS1_PKPS1_EvbiiT4_lT5_lllSC_lllT6_lmli,comdat
.Lfunc_end65:
	.size	_ZL34rocblas_ger_double_buffered_kernelILb1ELi64ELi16ELi2E19rocblas_complex_numIdE24rocblas_internal_val_ptrIS1_EPKPKS1_PKPS1_EvbiiT4_lT5_lllSC_lllT6_lmli, .Lfunc_end65-_ZL34rocblas_ger_double_buffered_kernelILb1ELi64ELi16ELi2E19rocblas_complex_numIdE24rocblas_internal_val_ptrIS1_EPKPKS1_PKPS1_EvbiiT4_lT5_lllSC_lllT6_lmli
                                        ; -- End function
	.set _ZL34rocblas_ger_double_buffered_kernelILb1ELi64ELi16ELi2E19rocblas_complex_numIdE24rocblas_internal_val_ptrIS1_EPKPKS1_PKPS1_EvbiiT4_lT5_lllSC_lllT6_lmli.num_vgpr, 60
	.set _ZL34rocblas_ger_double_buffered_kernelILb1ELi64ELi16ELi2E19rocblas_complex_numIdE24rocblas_internal_val_ptrIS1_EPKPKS1_PKPS1_EvbiiT4_lT5_lllSC_lllT6_lmli.num_agpr, 0
	.set _ZL34rocblas_ger_double_buffered_kernelILb1ELi64ELi16ELi2E19rocblas_complex_numIdE24rocblas_internal_val_ptrIS1_EPKPKS1_PKPS1_EvbiiT4_lT5_lllSC_lllT6_lmli.numbered_sgpr, 39
	.set _ZL34rocblas_ger_double_buffered_kernelILb1ELi64ELi16ELi2E19rocblas_complex_numIdE24rocblas_internal_val_ptrIS1_EPKPKS1_PKPS1_EvbiiT4_lT5_lllSC_lllT6_lmli.num_named_barrier, 0
	.set _ZL34rocblas_ger_double_buffered_kernelILb1ELi64ELi16ELi2E19rocblas_complex_numIdE24rocblas_internal_val_ptrIS1_EPKPKS1_PKPS1_EvbiiT4_lT5_lllSC_lllT6_lmli.private_seg_size, 0
	.set _ZL34rocblas_ger_double_buffered_kernelILb1ELi64ELi16ELi2E19rocblas_complex_numIdE24rocblas_internal_val_ptrIS1_EPKPKS1_PKPS1_EvbiiT4_lT5_lllSC_lllT6_lmli.uses_vcc, 1
	.set _ZL34rocblas_ger_double_buffered_kernelILb1ELi64ELi16ELi2E19rocblas_complex_numIdE24rocblas_internal_val_ptrIS1_EPKPKS1_PKPS1_EvbiiT4_lT5_lllSC_lllT6_lmli.uses_flat_scratch, 1
	.set _ZL34rocblas_ger_double_buffered_kernelILb1ELi64ELi16ELi2E19rocblas_complex_numIdE24rocblas_internal_val_ptrIS1_EPKPKS1_PKPS1_EvbiiT4_lT5_lllSC_lllT6_lmli.has_dyn_sized_stack, 0
	.set _ZL34rocblas_ger_double_buffered_kernelILb1ELi64ELi16ELi2E19rocblas_complex_numIdE24rocblas_internal_val_ptrIS1_EPKPKS1_PKPS1_EvbiiT4_lT5_lllSC_lllT6_lmli.has_recursion, 0
	.set _ZL34rocblas_ger_double_buffered_kernelILb1ELi64ELi16ELi2E19rocblas_complex_numIdE24rocblas_internal_val_ptrIS1_EPKPKS1_PKPS1_EvbiiT4_lT5_lllSC_lllT6_lmli.has_indirect_call, 0
	.section	.AMDGPU.csdata,"",@progbits
; Kernel info:
; codeLenInByte = 1168
; TotalNumSgprs: 41
; NumVgprs: 60
; ScratchSize: 0
; MemoryBound: 1
; FloatMode: 240
; IeeeMode: 1
; LDSByteSize: 0 bytes/workgroup (compile time only)
; SGPRBlocks: 0
; VGPRBlocks: 7
; NumSGPRsForWavesPerEU: 41
; NumVGPRsForWavesPerEU: 60
; Occupancy: 16
; WaveLimiterHint : 1
; COMPUTE_PGM_RSRC2:SCRATCH_EN: 0
; COMPUTE_PGM_RSRC2:USER_SGPR: 2
; COMPUTE_PGM_RSRC2:TRAP_HANDLER: 0
; COMPUTE_PGM_RSRC2:TGID_X_EN: 1
; COMPUTE_PGM_RSRC2:TGID_Y_EN: 1
; COMPUTE_PGM_RSRC2:TGID_Z_EN: 1
; COMPUTE_PGM_RSRC2:TIDIG_COMP_CNT: 1
	.section	.text._ZL18rocblas_ger_kernelILi32ELi32ELi2ELb1E19rocblas_complex_numIdEPKS1_PKS3_PKPS1_EviiT4_lT5_lllSA_lllT6_lmli,"axG",@progbits,_ZL18rocblas_ger_kernelILi32ELi32ELi2ELb1E19rocblas_complex_numIdEPKS1_PKS3_PKPS1_EviiT4_lT5_lllSA_lllT6_lmli,comdat
	.globl	_ZL18rocblas_ger_kernelILi32ELi32ELi2ELb1E19rocblas_complex_numIdEPKS1_PKS3_PKPS1_EviiT4_lT5_lllSA_lllT6_lmli ; -- Begin function _ZL18rocblas_ger_kernelILi32ELi32ELi2ELb1E19rocblas_complex_numIdEPKS1_PKS3_PKPS1_EviiT4_lT5_lllSA_lllT6_lmli
	.p2align	8
	.type	_ZL18rocblas_ger_kernelILi32ELi32ELi2ELb1E19rocblas_complex_numIdEPKS1_PKS3_PKPS1_EviiT4_lT5_lllSA_lllT6_lmli,@function
_ZL18rocblas_ger_kernelILi32ELi32ELi2ELb1E19rocblas_complex_numIdEPKS1_PKS3_PKPS1_EviiT4_lT5_lllSA_lllT6_lmli: ; @_ZL18rocblas_ger_kernelILi32ELi32ELi2ELb1E19rocblas_complex_numIdEPKS1_PKS3_PKPS1_EviiT4_lT5_lllSA_lllT6_lmli
; %bb.0:
	s_load_b32 s33, s[0:1], 0x78
	s_lshr_b32 s24, ttmp7, 16
	s_wait_kmcnt 0x0
	s_cmp_ge_u32 s24, s33
	s_cbranch_scc1 .LBB66_18
; %bb.1:
	s_clause 0x7
	s_load_b64 s[4:5], s[0:1], 0x0
	s_load_b128 s[8:11], s[0:1], 0x8
	s_load_b64 s[26:27], s[0:1], 0x18
	s_load_b128 s[12:15], s[0:1], 0x20
	;; [unrolled: 2-line block ×4, first 2 shown]
	s_mov_b32 s25, 0
	s_wait_kmcnt 0x0
	s_add_co_i32 s2, s4, -1
	s_delay_alu instid0(SALU_CYCLE_1) | instskip(NEXT) | instid1(SALU_CYCLE_1)
	s_ashr_i32 s3, s2, 31
	s_lshr_b32 s3, s3, 27
	s_delay_alu instid0(SALU_CYCLE_1) | instskip(NEXT) | instid1(SALU_CYCLE_1)
	s_add_co_i32 s2, s2, s3
	s_ashr_i32 s2, s2, 5
	s_delay_alu instid0(SALU_CYCLE_1) | instskip(SKIP_2) | instid1(SALU_CYCLE_3)
	s_add_co_i32 s3, s2, 1
	s_not_b32 s2, s2
	s_cvt_f32_u32 s6, s3
	v_rcp_iflag_f32_e32 v1, s6
	s_delay_alu instid0(TRANS32_DEP_1) | instskip(SKIP_3) | instid1(VALU_DEP_2)
	v_readfirstlane_b32 s6, v1
	v_bfe_u32 v1, v0, 10, 10
	v_and_b32_e32 v0, 0x3ff, v0
	s_mul_f32 s6, s6, 0x4f7ffffe
	v_lshlrev_b32_e32 v2, 1, v1
	s_delay_alu instid0(VALU_DEP_2) | instskip(SKIP_3) | instid1(VALU_DEP_2)
	v_lshlrev_b32_e32 v3, 4, v0
	v_lshlrev_b32_e32 v18, 5, v1
	s_wait_alu 0xfffe
	s_cvt_u32_f32 s6, s6
	v_add_nc_u32_e32 v19, 0x400, v3
	s_wait_alu 0xfffe
	s_delay_alu instid0(SALU_CYCLE_1) | instskip(SKIP_2) | instid1(SALU_CYCLE_1)
	s_mul_i32 s2, s2, s6
	v_add_nc_u32_e32 v20, v18, v3
	s_mul_hi_u32 s0, s6, s2
	s_add_co_i32 s6, s6, s0
	v_cmp_eq_u32_e64 s0, 0, v1
	s_wait_alu 0xfffe
	s_mul_hi_u32 s1, ttmp9, s6
	s_delay_alu instid0(SALU_CYCLE_1) | instskip(SKIP_2) | instid1(SALU_CYCLE_1)
	s_mul_i32 s2, s1, s3
	s_add_co_i32 s6, s1, 1
	s_sub_co_i32 s2, ttmp9, s2
	s_sub_co_i32 s7, s2, s3
	s_cmp_ge_u32 s2, s3
	s_wait_alu 0xfffe
	s_cselect_b32 s1, s6, s1
	s_cselect_b32 s2, s7, s2
	s_add_co_i32 s6, s1, 1
	s_cmp_ge_u32 s2, s3
	s_wait_alu 0xfffe
	s_cselect_b32 s2, s6, s1
	s_lshl_b64 s[12:13], s[12:13], 4
	v_lshl_add_u32 v10, s2, 6, v2
	s_mul_i32 s2, s2, s3
	s_wait_alu 0xfffe
	s_sub_co_i32 s2, ttmp9, s2
	s_delay_alu instid0(VALU_DEP_1) | instskip(SKIP_3) | instid1(VALU_DEP_4)
	v_or_b32_e32 v11, v10, v0
	v_mad_co_u64_u32 v[4:5], null, s22, v10, 0
	v_ashrrev_i32_e32 v8, 31, v10
	v_or_b32_e32 v13, 1, v10
	v_mad_co_u64_u32 v[2:3], null, s18, v11, 0
	v_mul_lo_u32 v12, s23, v10
	s_delay_alu instid0(VALU_DEP_4) | instskip(NEXT) | instid1(VALU_DEP_4)
	v_mul_lo_u32 v15, s22, v8
	v_mul_lo_u32 v21, s23, v13
	v_mad_co_u64_u32 v[16:17], null, s22, v13, 0
	v_mad_co_u64_u32 v[8:9], null, s19, v11, v[3:4]
	s_delay_alu instid0(VALU_DEP_4) | instskip(NEXT) | instid1(VALU_DEP_3)
	v_add3_u32 v5, v5, v15, v12
	v_add3_u32 v17, v17, v15, v21
	v_mov_b32_e32 v21, 0
	s_delay_alu instid0(VALU_DEP_4)
	v_mov_b32_e32 v3, v8
	v_cmp_gt_u32_e64 s1, 2, v0
	s_wait_alu 0xfffe
	v_lshl_add_u32 v0, s2, 5, v0
	v_cmp_gt_i32_e64 s2, s5, v10
	v_lshlrev_b64_e32 v[16:17], 4, v[16:17]
	s_delay_alu instid0(VALU_DEP_3) | instskip(SKIP_3) | instid1(VALU_DEP_4)
	v_ashrrev_i32_e32 v1, 31, v0
	v_mul_lo_u32 v14, s15, v0
	v_mad_co_u64_u32 v[6:7], null, s14, v0, 0
	v_cmp_gt_i32_e64 s3, s4, v0
	v_mul_lo_u32 v22, s14, v1
	v_cmp_gt_u32_e64 s4, s5, v11
	v_cmp_gt_i32_e64 s5, s5, v13
	v_lshlrev_b64_e32 v[8:9], 4, v[0:1]
	v_lshlrev_b64_e32 v[10:11], 4, v[4:5]
	s_lshl_b64 s[14:15], s[16:17], 4
	s_lshl_b64 s[16:17], s[20:21], 4
	v_add3_u32 v7, v7, v22, v14
	v_lshlrev_b64_e32 v[14:15], 4, v[2:3]
	s_delay_alu instid0(VALU_DEP_2)
	v_lshlrev_b64_e32 v[12:13], 4, v[6:7]
	s_branch .LBB66_4
.LBB66_2:                               ;   in Loop: Header=BB66_4 Depth=1
	s_wait_alu 0xfffe
	s_or_b32 exec_lo, exec_lo, s18
.LBB66_3:                               ;   in Loop: Header=BB66_4 Depth=1
	s_add_co_i32 s24, s24, 0x10000
	s_delay_alu instid0(SALU_CYCLE_1)
	s_cmp_lt_u32 s24, s33
	s_cbranch_scc0 .LBB66_18
.LBB66_4:                               ; =>This Inner Loop Header: Depth=1
	s_mul_u64 s[6:7], s[10:11], s[24:25]
	s_wait_alu 0xfffe
	s_lshl_b64 s[6:7], s[6:7], 4
	s_wait_alu 0xfffe
	s_add_nc_u64 s[6:7], s[8:9], s[6:7]
	global_load_b128 v[0:3], v21, s[6:7]
	s_wait_loadcnt 0x0
	v_cmp_neq_f64_e32 vcc_lo, 0, v[0:1]
	v_cmp_neq_f64_e64 s6, 0, v[2:3]
	s_wait_alu 0xfffe
	s_or_b32 s6, vcc_lo, s6
	s_wait_alu 0xfffe
	s_and_not1_b32 vcc_lo, exec_lo, s6
	s_wait_alu 0xfffe
	s_cbranch_vccnz .LBB66_3
; %bb.5:                                ;   in Loop: Header=BB66_4 Depth=1
	s_lshl_b64 s[20:21], s[24:25], 3
	s_wait_alu 0xfffe
	s_add_nc_u64 s[6:7], s[28:29], s[20:21]
	s_add_nc_u64 s[22:23], s[30:31], s[20:21]
	s_load_b64 s[18:19], s[6:7], 0x0
	s_load_b64 s[6:7], s[22:23], 0x0
	s_and_saveexec_b32 s22, s0
	s_cbranch_execz .LBB66_9
; %bb.6:                                ;   in Loop: Header=BB66_4 Depth=1
	v_mov_b32_e32 v4, 0
	v_dual_mov_b32 v5, 0 :: v_dual_mov_b32 v6, 0
	v_mov_b32_e32 v7, 0
	s_and_saveexec_b32 s23, s3
	s_cbranch_execz .LBB66_8
; %bb.7:                                ;   in Loop: Header=BB66_4 Depth=1
	s_add_nc_u64 s[20:21], s[26:27], s[20:21]
	s_load_b64 s[20:21], s[20:21], 0x0
	s_wait_kmcnt 0x0
	s_add_nc_u64 s[20:21], s[20:21], s[12:13]
	s_wait_alu 0xfffe
	v_add_co_u32 v4, vcc_lo, s20, v12
	s_wait_alu 0xfffd
	v_add_co_ci_u32_e64 v5, null, s21, v13, vcc_lo
	flat_load_b128 v[4:7], v[4:5]
.LBB66_8:                               ;   in Loop: Header=BB66_4 Depth=1
	s_wait_alu 0xfffe
	s_or_b32 exec_lo, exec_lo, s23
	s_wait_loadcnt_dscnt 0x0
	ds_store_b128 v19, v[4:7]
.LBB66_9:                               ;   in Loop: Header=BB66_4 Depth=1
	s_wait_alu 0xfffe
	s_or_b32 exec_lo, exec_lo, s22
	s_and_saveexec_b32 s20, s1
	s_cbranch_execz .LBB66_13
; %bb.10:                               ;   in Loop: Header=BB66_4 Depth=1
	v_mov_b32_e32 v4, 0
	v_dual_mov_b32 v5, 0 :: v_dual_mov_b32 v6, 0
	v_mov_b32_e32 v7, 0
	s_and_saveexec_b32 s21, s4
	s_cbranch_execz .LBB66_12
; %bb.11:                               ;   in Loop: Header=BB66_4 Depth=1
	s_wait_kmcnt 0x0
	s_add_nc_u64 s[18:19], s[18:19], s[14:15]
	s_wait_alu 0xfffe
	v_add_co_u32 v4, vcc_lo, s18, v14
	s_wait_alu 0xfffd
	v_add_co_ci_u32_e64 v5, null, s19, v15, vcc_lo
	flat_load_b128 v[4:7], v[4:5]
.LBB66_12:                              ;   in Loop: Header=BB66_4 Depth=1
	s_wait_alu 0xfffe
	s_or_b32 exec_lo, exec_lo, s21
	s_wait_loadcnt_dscnt 0x0
	ds_store_b128 v20, v[4:7]
.LBB66_13:                              ;   in Loop: Header=BB66_4 Depth=1
	s_wait_alu 0xfffe
	s_or_b32 exec_lo, exec_lo, s20
	s_wait_dscnt 0x0
	s_barrier_signal -1
	s_barrier_wait -1
	global_inv scope:SCOPE_SE
	s_wait_kmcnt 0x0
	s_and_saveexec_b32 s18, s3
	s_cbranch_execz .LBB66_2
; %bb.14:                               ;   in Loop: Header=BB66_4 Depth=1
	ds_load_b128 v[4:7], v19
	s_add_nc_u64 s[6:7], s[6:7], s[16:17]
	s_wait_dscnt 0x0
	v_mul_f64_e32 v[22:23], v[2:3], v[6:7]
	v_mul_f64_e32 v[6:7], v[0:1], v[6:7]
	s_delay_alu instid0(VALU_DEP_2) | instskip(NEXT) | instid1(VALU_DEP_2)
	v_fma_f64 v[0:1], v[0:1], v[4:5], -v[22:23]
	v_fma_f64 v[2:3], v[2:3], v[4:5], v[6:7]
	s_wait_alu 0xfffe
	v_add_co_u32 v4, vcc_lo, s6, v8
	s_wait_alu 0xfffd
	v_add_co_ci_u32_e64 v5, null, s7, v9, vcc_lo
	s_and_saveexec_b32 s6, s2
	s_cbranch_execz .LBB66_16
; %bb.15:                               ;   in Loop: Header=BB66_4 Depth=1
	v_add_co_u32 v6, vcc_lo, v4, v10
	s_wait_alu 0xfffd
	v_add_co_ci_u32_e64 v7, null, v5, v11, vcc_lo
	ds_load_b128 v[26:29], v18
	flat_load_b128 v[22:25], v[6:7]
	s_wait_dscnt 0x1
	v_mul_f64_e32 v[30:31], v[2:3], v[28:29]
	v_mul_f64_e32 v[28:29], v[0:1], v[28:29]
	s_delay_alu instid0(VALU_DEP_2) | instskip(NEXT) | instid1(VALU_DEP_2)
	v_fma_f64 v[30:31], v[0:1], v[26:27], v[30:31]
	v_fma_f64 v[26:27], v[2:3], v[26:27], -v[28:29]
	s_wait_loadcnt_dscnt 0x0
	s_delay_alu instid0(VALU_DEP_2) | instskip(NEXT) | instid1(VALU_DEP_2)
	v_add_f64_e32 v[22:23], v[22:23], v[30:31]
	v_add_f64_e32 v[24:25], v[26:27], v[24:25]
	flat_store_b128 v[6:7], v[22:25]
.LBB66_16:                              ;   in Loop: Header=BB66_4 Depth=1
	s_wait_alu 0xfffe
	s_or_b32 exec_lo, exec_lo, s6
	s_delay_alu instid0(SALU_CYCLE_1)
	s_and_b32 exec_lo, exec_lo, s5
	s_cbranch_execz .LBB66_2
; %bb.17:                               ;   in Loop: Header=BB66_4 Depth=1
	v_add_co_u32 v26, vcc_lo, v4, v16
	s_wait_alu 0xfffd
	v_add_co_ci_u32_e64 v27, null, v5, v17, vcc_lo
	ds_load_b128 v[22:25], v18 offset:16
	flat_load_b128 v[4:7], v[26:27]
	s_wait_dscnt 0x1
	v_mul_f64_e32 v[28:29], v[2:3], v[24:25]
	v_mul_f64_e32 v[24:25], v[0:1], v[24:25]
	s_delay_alu instid0(VALU_DEP_2) | instskip(NEXT) | instid1(VALU_DEP_2)
	v_fma_f64 v[0:1], v[0:1], v[22:23], v[28:29]
	v_fma_f64 v[2:3], v[2:3], v[22:23], -v[24:25]
	s_wait_loadcnt_dscnt 0x0
	s_delay_alu instid0(VALU_DEP_2) | instskip(NEXT) | instid1(VALU_DEP_2)
	v_add_f64_e32 v[0:1], v[4:5], v[0:1]
	v_add_f64_e32 v[2:3], v[2:3], v[6:7]
	flat_store_b128 v[26:27], v[0:3]
	s_branch .LBB66_2
.LBB66_18:
	s_endpgm
	.section	.rodata,"a",@progbits
	.p2align	6, 0x0
	.amdhsa_kernel _ZL18rocblas_ger_kernelILi32ELi32ELi2ELb1E19rocblas_complex_numIdEPKS1_PKS3_PKPS1_EviiT4_lT5_lllSA_lllT6_lmli
		.amdhsa_group_segment_fixed_size 1536
		.amdhsa_private_segment_fixed_size 0
		.amdhsa_kernarg_size 124
		.amdhsa_user_sgpr_count 2
		.amdhsa_user_sgpr_dispatch_ptr 0
		.amdhsa_user_sgpr_queue_ptr 0
		.amdhsa_user_sgpr_kernarg_segment_ptr 1
		.amdhsa_user_sgpr_dispatch_id 0
		.amdhsa_user_sgpr_private_segment_size 0
		.amdhsa_wavefront_size32 1
		.amdhsa_uses_dynamic_stack 0
		.amdhsa_enable_private_segment 0
		.amdhsa_system_sgpr_workgroup_id_x 1
		.amdhsa_system_sgpr_workgroup_id_y 0
		.amdhsa_system_sgpr_workgroup_id_z 1
		.amdhsa_system_sgpr_workgroup_info 0
		.amdhsa_system_vgpr_workitem_id 1
		.amdhsa_next_free_vgpr 32
		.amdhsa_next_free_sgpr 34
		.amdhsa_reserve_vcc 1
		.amdhsa_float_round_mode_32 0
		.amdhsa_float_round_mode_16_64 0
		.amdhsa_float_denorm_mode_32 3
		.amdhsa_float_denorm_mode_16_64 3
		.amdhsa_fp16_overflow 0
		.amdhsa_workgroup_processor_mode 1
		.amdhsa_memory_ordered 1
		.amdhsa_forward_progress 1
		.amdhsa_inst_pref_size 10
		.amdhsa_round_robin_scheduling 0
		.amdhsa_exception_fp_ieee_invalid_op 0
		.amdhsa_exception_fp_denorm_src 0
		.amdhsa_exception_fp_ieee_div_zero 0
		.amdhsa_exception_fp_ieee_overflow 0
		.amdhsa_exception_fp_ieee_underflow 0
		.amdhsa_exception_fp_ieee_inexact 0
		.amdhsa_exception_int_div_zero 0
	.end_amdhsa_kernel
	.section	.text._ZL18rocblas_ger_kernelILi32ELi32ELi2ELb1E19rocblas_complex_numIdEPKS1_PKS3_PKPS1_EviiT4_lT5_lllSA_lllT6_lmli,"axG",@progbits,_ZL18rocblas_ger_kernelILi32ELi32ELi2ELb1E19rocblas_complex_numIdEPKS1_PKS3_PKPS1_EviiT4_lT5_lllSA_lllT6_lmli,comdat
.Lfunc_end66:
	.size	_ZL18rocblas_ger_kernelILi32ELi32ELi2ELb1E19rocblas_complex_numIdEPKS1_PKS3_PKPS1_EviiT4_lT5_lllSA_lllT6_lmli, .Lfunc_end66-_ZL18rocblas_ger_kernelILi32ELi32ELi2ELb1E19rocblas_complex_numIdEPKS1_PKS3_PKPS1_EviiT4_lT5_lllSA_lllT6_lmli
                                        ; -- End function
	.set _ZL18rocblas_ger_kernelILi32ELi32ELi2ELb1E19rocblas_complex_numIdEPKS1_PKS3_PKPS1_EviiT4_lT5_lllSA_lllT6_lmli.num_vgpr, 32
	.set _ZL18rocblas_ger_kernelILi32ELi32ELi2ELb1E19rocblas_complex_numIdEPKS1_PKS3_PKPS1_EviiT4_lT5_lllSA_lllT6_lmli.num_agpr, 0
	.set _ZL18rocblas_ger_kernelILi32ELi32ELi2ELb1E19rocblas_complex_numIdEPKS1_PKS3_PKPS1_EviiT4_lT5_lllSA_lllT6_lmli.numbered_sgpr, 34
	.set _ZL18rocblas_ger_kernelILi32ELi32ELi2ELb1E19rocblas_complex_numIdEPKS1_PKS3_PKPS1_EviiT4_lT5_lllSA_lllT6_lmli.num_named_barrier, 0
	.set _ZL18rocblas_ger_kernelILi32ELi32ELi2ELb1E19rocblas_complex_numIdEPKS1_PKS3_PKPS1_EviiT4_lT5_lllSA_lllT6_lmli.private_seg_size, 0
	.set _ZL18rocblas_ger_kernelILi32ELi32ELi2ELb1E19rocblas_complex_numIdEPKS1_PKS3_PKPS1_EviiT4_lT5_lllSA_lllT6_lmli.uses_vcc, 1
	.set _ZL18rocblas_ger_kernelILi32ELi32ELi2ELb1E19rocblas_complex_numIdEPKS1_PKS3_PKPS1_EviiT4_lT5_lllSA_lllT6_lmli.uses_flat_scratch, 0
	.set _ZL18rocblas_ger_kernelILi32ELi32ELi2ELb1E19rocblas_complex_numIdEPKS1_PKS3_PKPS1_EviiT4_lT5_lllSA_lllT6_lmli.has_dyn_sized_stack, 0
	.set _ZL18rocblas_ger_kernelILi32ELi32ELi2ELb1E19rocblas_complex_numIdEPKS1_PKS3_PKPS1_EviiT4_lT5_lllSA_lllT6_lmli.has_recursion, 0
	.set _ZL18rocblas_ger_kernelILi32ELi32ELi2ELb1E19rocblas_complex_numIdEPKS1_PKS3_PKPS1_EviiT4_lT5_lllSA_lllT6_lmli.has_indirect_call, 0
	.section	.AMDGPU.csdata,"",@progbits
; Kernel info:
; codeLenInByte = 1256
; TotalNumSgprs: 36
; NumVgprs: 32
; ScratchSize: 0
; MemoryBound: 1
; FloatMode: 240
; IeeeMode: 1
; LDSByteSize: 1536 bytes/workgroup (compile time only)
; SGPRBlocks: 0
; VGPRBlocks: 3
; NumSGPRsForWavesPerEU: 36
; NumVGPRsForWavesPerEU: 32
; Occupancy: 16
; WaveLimiterHint : 1
; COMPUTE_PGM_RSRC2:SCRATCH_EN: 0
; COMPUTE_PGM_RSRC2:USER_SGPR: 2
; COMPUTE_PGM_RSRC2:TRAP_HANDLER: 0
; COMPUTE_PGM_RSRC2:TGID_X_EN: 1
; COMPUTE_PGM_RSRC2:TGID_Y_EN: 0
; COMPUTE_PGM_RSRC2:TGID_Z_EN: 1
; COMPUTE_PGM_RSRC2:TIDIG_COMP_CNT: 1
	.section	.text._ZL18rocblas_ger_kernelILi32ELi32ELi2ELb1E19rocblas_complex_numIdES1_PKPKS1_PKPS1_EviiT4_lT5_lllSA_lllT6_lmli,"axG",@progbits,_ZL18rocblas_ger_kernelILi32ELi32ELi2ELb1E19rocblas_complex_numIdES1_PKPKS1_PKPS1_EviiT4_lT5_lllSA_lllT6_lmli,comdat
	.globl	_ZL18rocblas_ger_kernelILi32ELi32ELi2ELb1E19rocblas_complex_numIdES1_PKPKS1_PKPS1_EviiT4_lT5_lllSA_lllT6_lmli ; -- Begin function _ZL18rocblas_ger_kernelILi32ELi32ELi2ELb1E19rocblas_complex_numIdES1_PKPKS1_PKPS1_EviiT4_lT5_lllSA_lllT6_lmli
	.p2align	8
	.type	_ZL18rocblas_ger_kernelILi32ELi32ELi2ELb1E19rocblas_complex_numIdES1_PKPKS1_PKPS1_EviiT4_lT5_lllSA_lllT6_lmli,@function
_ZL18rocblas_ger_kernelILi32ELi32ELi2ELb1E19rocblas_complex_numIdES1_PKPKS1_PKPS1_EviiT4_lT5_lllSA_lllT6_lmli: ; @_ZL18rocblas_ger_kernelILi32ELi32ELi2ELb1E19rocblas_complex_numIdES1_PKPKS1_PKPS1_EviiT4_lT5_lllSA_lllT6_lmli
; %bb.0:
	s_load_b32 s30, s[0:1], 0x80
	s_lshr_b32 s6, ttmp7, 16
	s_wait_kmcnt 0x0
	s_cmp_ge_u32 s6, s30
	s_cbranch_scc1 .LBB67_18
; %bb.1:
	s_clause 0x7
	s_load_b64 s[4:5], s[0:1], 0x0
	s_load_b128 s[8:11], s[0:1], 0x8
	s_load_b64 s[24:25], s[0:1], 0x20
	s_load_b128 s[12:15], s[0:1], 0x28
	;; [unrolled: 2-line block ×4, first 2 shown]
	v_and_b32_e32 v2, 0x3ff, v0
	s_wait_kmcnt 0x0
	s_add_co_i32 s2, s4, -1
	s_delay_alu instid0(SALU_CYCLE_1) | instskip(NEXT) | instid1(SALU_CYCLE_1)
	s_ashr_i32 s3, s2, 31
	s_lshr_b32 s3, s3, 27
	s_delay_alu instid0(SALU_CYCLE_1) | instskip(NEXT) | instid1(SALU_CYCLE_1)
	s_add_co_i32 s2, s2, s3
	s_ashr_i32 s2, s2, 5
	s_delay_alu instid0(SALU_CYCLE_1) | instskip(SKIP_2) | instid1(SALU_CYCLE_3)
	s_add_co_i32 s3, s2, 1
	s_not_b32 s1, s2
	s_cvt_f32_u32 s7, s3
	v_rcp_iflag_f32_e32 v1, s7
	s_delay_alu instid0(TRANS32_DEP_1) | instskip(SKIP_2) | instid1(VALU_DEP_1)
	v_readfirstlane_b32 s7, v1
	v_bfe_u32 v1, v0, 10, 10
	s_mul_f32 s7, s7, 0x4f7ffffe
	v_lshlrev_b32_e32 v0, 1, v1
	v_lshlrev_b32_e32 v14, 5, v1
	s_wait_alu 0xfffe
	s_cvt_u32_f32 s0, s7
	s_mov_b32 s7, 0
	s_delay_alu instid0(SALU_CYCLE_2) | instskip(NEXT) | instid1(SALU_CYCLE_1)
	s_mul_i32 s1, s1, s0
	s_mul_hi_u32 s1, s0, s1
	s_delay_alu instid0(SALU_CYCLE_1) | instskip(SKIP_2) | instid1(SALU_CYCLE_1)
	s_add_co_i32 s1, s0, s1
	v_cmp_eq_u32_e64 s0, 0, v1
	s_mul_hi_u32 s2, ttmp9, s1
	s_mul_i32 s31, s2, s3
	s_add_co_i32 s33, s2, 1
	s_sub_co_i32 s31, ttmp9, s31
	s_delay_alu instid0(SALU_CYCLE_1)
	s_sub_co_i32 s34, s31, s3
	s_cmp_ge_u32 s31, s3
	s_cselect_b32 s2, s33, s2
	s_cselect_b32 s31, s34, s31
	s_add_co_i32 s33, s2, 1
	s_cmp_ge_u32 s31, s3
	v_cmp_neq_f64_e64 s31, s[8:9], 0
	s_cselect_b32 s2, s33, s2
	v_cmp_neq_f64_e64 s33, s[10:11], 0
	v_lshl_add_u32 v6, s2, 6, v0
	s_mul_i32 s2, s2, s3
	s_lshl_b64 s[12:13], s[12:13], 4
	s_wait_alu 0xfffe
	s_sub_co_i32 s2, ttmp9, s2
	s_wait_alu 0xfffe
	v_lshl_add_u32 v0, s2, 5, v2
	v_or_b32_e32 v7, v6, v2
	v_ashrrev_i32_e32 v4, 31, v6
	v_or_b32_e32 v18, 1, v6
	v_mul_lo_u32 v17, s23, v6
	v_ashrrev_i32_e32 v1, 31, v0
	v_mad_co_u64_u32 v[12:13], null, s18, v7, 0
	v_mul_lo_u32 v20, s22, v4
	v_mul_lo_u32 v19, s15, v0
	v_mad_co_u64_u32 v[10:11], null, s14, v0, 0
	v_mul_lo_u32 v21, s23, v18
	v_mad_co_u64_u32 v[8:9], null, s22, v18, 0
	v_mov_b32_e32 v4, v13
	v_mul_lo_u32 v13, s14, v1
	v_cmp_gt_i32_e64 s2, s5, v6
	v_cmp_gt_i32_e64 s3, s4, v0
	v_cmp_gt_u32_e64 s4, s5, v7
	v_mad_co_u64_u32 v[4:5], null, s19, v7, v[4:5]
	v_add3_u32 v9, v9, v20, v21
	v_cmp_gt_i32_e64 s5, s5, v18
	v_add3_u32 v11, v11, v13, v19
	s_lshl_b64 s[14:15], s[16:17], 4
	s_lshl_b64 s[16:17], s[20:21], 4
	v_lshlrev_b64_e32 v[8:9], 4, v[8:9]
	v_mov_b32_e32 v13, v4
	v_lshlrev_b32_e32 v3, 4, v2
	v_cmp_gt_u32_e64 s1, 2, v2
	v_lshlrev_b64_e32 v[4:5], 4, v[0:1]
	v_lshlrev_b64_e32 v[10:11], 4, v[10:11]
	;; [unrolled: 1-line block ×3, first 2 shown]
	v_add_nc_u32_e32 v15, 0x400, v3
	v_add_nc_u32_e32 v16, v14, v3
	v_mad_co_u64_u32 v[2:3], null, s22, v6, 0
	s_or_b32 s31, s31, s33
	v_add3_u32 v3, v3, v20, v17
	s_delay_alu instid0(VALU_DEP_1)
	v_lshlrev_b64_e32 v[6:7], 4, v[2:3]
	s_branch .LBB67_4
.LBB67_2:                               ;   in Loop: Header=BB67_4 Depth=1
	s_wait_alu 0xfffe
	s_or_b32 exec_lo, exec_lo, s20
.LBB67_3:                               ;   in Loop: Header=BB67_4 Depth=1
	s_add_co_i32 s6, s6, 0x10000
	s_wait_alu 0xfffe
	s_cmp_lt_u32 s6, s30
	s_cbranch_scc0 .LBB67_18
.LBB67_4:                               ; =>This Inner Loop Header: Depth=1
	s_and_not1_b32 vcc_lo, exec_lo, s31
	s_wait_alu 0xfffe
	s_cbranch_vccnz .LBB67_3
; %bb.5:                                ;   in Loop: Header=BB67_4 Depth=1
	s_lshl_b64 s[22:23], s[6:7], 3
	s_wait_alu 0xfffe
	s_add_nc_u64 s[18:19], s[26:27], s[22:23]
	s_add_nc_u64 s[34:35], s[28:29], s[22:23]
	s_load_b64 s[20:21], s[18:19], 0x0
	s_load_b64 s[18:19], s[34:35], 0x0
	s_and_saveexec_b32 s33, s0
	s_cbranch_execz .LBB67_9
; %bb.6:                                ;   in Loop: Header=BB67_4 Depth=1
	v_mov_b32_e32 v0, 0
	v_dual_mov_b32 v1, 0 :: v_dual_mov_b32 v2, 0
	v_mov_b32_e32 v3, 0
	s_and_saveexec_b32 s34, s3
	s_cbranch_execz .LBB67_8
; %bb.7:                                ;   in Loop: Header=BB67_4 Depth=1
	s_add_nc_u64 s[22:23], s[24:25], s[22:23]
	s_load_b64 s[22:23], s[22:23], 0x0
	s_wait_kmcnt 0x0
	s_add_nc_u64 s[22:23], s[22:23], s[12:13]
	s_wait_alu 0xfffe
	v_add_co_u32 v0, vcc_lo, s22, v10
	s_wait_alu 0xfffd
	v_add_co_ci_u32_e64 v1, null, s23, v11, vcc_lo
	flat_load_b128 v[0:3], v[0:1]
.LBB67_8:                               ;   in Loop: Header=BB67_4 Depth=1
	s_or_b32 exec_lo, exec_lo, s34
	s_wait_loadcnt_dscnt 0x0
	ds_store_b128 v15, v[0:3]
.LBB67_9:                               ;   in Loop: Header=BB67_4 Depth=1
	s_or_b32 exec_lo, exec_lo, s33
	s_and_saveexec_b32 s22, s1
	s_cbranch_execz .LBB67_13
; %bb.10:                               ;   in Loop: Header=BB67_4 Depth=1
	v_mov_b32_e32 v0, 0
	v_dual_mov_b32 v1, 0 :: v_dual_mov_b32 v2, 0
	v_mov_b32_e32 v3, 0
	s_and_saveexec_b32 s23, s4
	s_cbranch_execz .LBB67_12
; %bb.11:                               ;   in Loop: Header=BB67_4 Depth=1
	s_wait_kmcnt 0x0
	s_add_nc_u64 s[20:21], s[20:21], s[14:15]
	s_wait_alu 0xfffe
	v_add_co_u32 v0, vcc_lo, s20, v12
	s_wait_alu 0xfffd
	v_add_co_ci_u32_e64 v1, null, s21, v13, vcc_lo
	flat_load_b128 v[0:3], v[0:1]
.LBB67_12:                              ;   in Loop: Header=BB67_4 Depth=1
	s_wait_alu 0xfffe
	s_or_b32 exec_lo, exec_lo, s23
	s_wait_loadcnt_dscnt 0x0
	ds_store_b128 v16, v[0:3]
.LBB67_13:                              ;   in Loop: Header=BB67_4 Depth=1
	s_wait_alu 0xfffe
	s_or_b32 exec_lo, exec_lo, s22
	s_wait_dscnt 0x0
	s_barrier_signal -1
	s_barrier_wait -1
	global_inv scope:SCOPE_SE
	s_wait_kmcnt 0x0
	s_and_saveexec_b32 s20, s3
	s_cbranch_execz .LBB67_2
; %bb.14:                               ;   in Loop: Header=BB67_4 Depth=1
	ds_load_b128 v[17:20], v15
	s_add_nc_u64 s[18:19], s[18:19], s[16:17]
	s_wait_dscnt 0x0
	v_mul_f64_e32 v[0:1], s[10:11], v[19:20]
	v_mul_f64_e32 v[2:3], s[8:9], v[19:20]
	s_delay_alu instid0(VALU_DEP_2) | instskip(NEXT) | instid1(VALU_DEP_2)
	v_fma_f64 v[0:1], s[8:9], v[17:18], -v[0:1]
	v_fma_f64 v[2:3], s[10:11], v[17:18], v[2:3]
	s_wait_alu 0xfffe
	v_add_co_u32 v17, vcc_lo, s18, v4
	s_wait_alu 0xfffd
	v_add_co_ci_u32_e64 v18, null, s19, v5, vcc_lo
	s_and_saveexec_b32 s18, s2
	s_cbranch_execz .LBB67_16
; %bb.15:                               ;   in Loop: Header=BB67_4 Depth=1
	v_add_co_u32 v27, vcc_lo, v17, v6
	s_wait_alu 0xfffd
	v_add_co_ci_u32_e64 v28, null, v18, v7, vcc_lo
	ds_load_b128 v[23:26], v14
	flat_load_b128 v[19:22], v[27:28]
	s_wait_dscnt 0x1
	v_mul_f64_e32 v[29:30], v[2:3], v[25:26]
	v_mul_f64_e32 v[25:26], v[0:1], v[25:26]
	s_delay_alu instid0(VALU_DEP_2) | instskip(NEXT) | instid1(VALU_DEP_2)
	v_fma_f64 v[29:30], v[0:1], v[23:24], v[29:30]
	v_fma_f64 v[23:24], v[2:3], v[23:24], -v[25:26]
	s_wait_loadcnt_dscnt 0x0
	s_delay_alu instid0(VALU_DEP_2) | instskip(NEXT) | instid1(VALU_DEP_2)
	v_add_f64_e32 v[19:20], v[19:20], v[29:30]
	v_add_f64_e32 v[21:22], v[23:24], v[21:22]
	flat_store_b128 v[27:28], v[19:22]
.LBB67_16:                              ;   in Loop: Header=BB67_4 Depth=1
	s_wait_alu 0xfffe
	s_or_b32 exec_lo, exec_lo, s18
	s_delay_alu instid0(SALU_CYCLE_1)
	s_and_b32 exec_lo, exec_lo, s5
	s_cbranch_execz .LBB67_2
; %bb.17:                               ;   in Loop: Header=BB67_4 Depth=1
	v_add_co_u32 v25, vcc_lo, v17, v8
	s_wait_alu 0xfffd
	v_add_co_ci_u32_e64 v26, null, v18, v9, vcc_lo
	ds_load_b128 v[21:24], v14 offset:16
	flat_load_b128 v[17:20], v[25:26]
	s_wait_dscnt 0x1
	v_mul_f64_e32 v[27:28], v[2:3], v[23:24]
	v_mul_f64_e32 v[23:24], v[0:1], v[23:24]
	s_delay_alu instid0(VALU_DEP_2) | instskip(NEXT) | instid1(VALU_DEP_2)
	v_fma_f64 v[0:1], v[0:1], v[21:22], v[27:28]
	v_fma_f64 v[2:3], v[2:3], v[21:22], -v[23:24]
	s_wait_loadcnt_dscnt 0x0
	s_delay_alu instid0(VALU_DEP_2) | instskip(NEXT) | instid1(VALU_DEP_2)
	v_add_f64_e32 v[0:1], v[17:18], v[0:1]
	v_add_f64_e32 v[2:3], v[2:3], v[19:20]
	flat_store_b128 v[25:26], v[0:3]
	s_branch .LBB67_2
.LBB67_18:
	s_endpgm
	.section	.rodata,"a",@progbits
	.p2align	6, 0x0
	.amdhsa_kernel _ZL18rocblas_ger_kernelILi32ELi32ELi2ELb1E19rocblas_complex_numIdES1_PKPKS1_PKPS1_EviiT4_lT5_lllSA_lllT6_lmli
		.amdhsa_group_segment_fixed_size 1536
		.amdhsa_private_segment_fixed_size 0
		.amdhsa_kernarg_size 132
		.amdhsa_user_sgpr_count 2
		.amdhsa_user_sgpr_dispatch_ptr 0
		.amdhsa_user_sgpr_queue_ptr 0
		.amdhsa_user_sgpr_kernarg_segment_ptr 1
		.amdhsa_user_sgpr_dispatch_id 0
		.amdhsa_user_sgpr_private_segment_size 0
		.amdhsa_wavefront_size32 1
		.amdhsa_uses_dynamic_stack 0
		.amdhsa_enable_private_segment 0
		.amdhsa_system_sgpr_workgroup_id_x 1
		.amdhsa_system_sgpr_workgroup_id_y 0
		.amdhsa_system_sgpr_workgroup_id_z 1
		.amdhsa_system_sgpr_workgroup_info 0
		.amdhsa_system_vgpr_workitem_id 1
		.amdhsa_next_free_vgpr 31
		.amdhsa_next_free_sgpr 36
		.amdhsa_reserve_vcc 1
		.amdhsa_float_round_mode_32 0
		.amdhsa_float_round_mode_16_64 0
		.amdhsa_float_denorm_mode_32 3
		.amdhsa_float_denorm_mode_16_64 3
		.amdhsa_fp16_overflow 0
		.amdhsa_workgroup_processor_mode 1
		.amdhsa_memory_ordered 1
		.amdhsa_forward_progress 1
		.amdhsa_inst_pref_size 10
		.amdhsa_round_robin_scheduling 0
		.amdhsa_exception_fp_ieee_invalid_op 0
		.amdhsa_exception_fp_denorm_src 0
		.amdhsa_exception_fp_ieee_div_zero 0
		.amdhsa_exception_fp_ieee_overflow 0
		.amdhsa_exception_fp_ieee_underflow 0
		.amdhsa_exception_fp_ieee_inexact 0
		.amdhsa_exception_int_div_zero 0
	.end_amdhsa_kernel
	.section	.text._ZL18rocblas_ger_kernelILi32ELi32ELi2ELb1E19rocblas_complex_numIdES1_PKPKS1_PKPS1_EviiT4_lT5_lllSA_lllT6_lmli,"axG",@progbits,_ZL18rocblas_ger_kernelILi32ELi32ELi2ELb1E19rocblas_complex_numIdES1_PKPKS1_PKPS1_EviiT4_lT5_lllSA_lllT6_lmli,comdat
.Lfunc_end67:
	.size	_ZL18rocblas_ger_kernelILi32ELi32ELi2ELb1E19rocblas_complex_numIdES1_PKPKS1_PKPS1_EviiT4_lT5_lllSA_lllT6_lmli, .Lfunc_end67-_ZL18rocblas_ger_kernelILi32ELi32ELi2ELb1E19rocblas_complex_numIdES1_PKPKS1_PKPS1_EviiT4_lT5_lllSA_lllT6_lmli
                                        ; -- End function
	.set _ZL18rocblas_ger_kernelILi32ELi32ELi2ELb1E19rocblas_complex_numIdES1_PKPKS1_PKPS1_EviiT4_lT5_lllSA_lllT6_lmli.num_vgpr, 31
	.set _ZL18rocblas_ger_kernelILi32ELi32ELi2ELb1E19rocblas_complex_numIdES1_PKPKS1_PKPS1_EviiT4_lT5_lllSA_lllT6_lmli.num_agpr, 0
	.set _ZL18rocblas_ger_kernelILi32ELi32ELi2ELb1E19rocblas_complex_numIdES1_PKPKS1_PKPS1_EviiT4_lT5_lllSA_lllT6_lmli.numbered_sgpr, 36
	.set _ZL18rocblas_ger_kernelILi32ELi32ELi2ELb1E19rocblas_complex_numIdES1_PKPKS1_PKPS1_EviiT4_lT5_lllSA_lllT6_lmli.num_named_barrier, 0
	.set _ZL18rocblas_ger_kernelILi32ELi32ELi2ELb1E19rocblas_complex_numIdES1_PKPKS1_PKPS1_EviiT4_lT5_lllSA_lllT6_lmli.private_seg_size, 0
	.set _ZL18rocblas_ger_kernelILi32ELi32ELi2ELb1E19rocblas_complex_numIdES1_PKPKS1_PKPS1_EviiT4_lT5_lllSA_lllT6_lmli.uses_vcc, 1
	.set _ZL18rocblas_ger_kernelILi32ELi32ELi2ELb1E19rocblas_complex_numIdES1_PKPKS1_PKPS1_EviiT4_lT5_lllSA_lllT6_lmli.uses_flat_scratch, 0
	.set _ZL18rocblas_ger_kernelILi32ELi32ELi2ELb1E19rocblas_complex_numIdES1_PKPKS1_PKPS1_EviiT4_lT5_lllSA_lllT6_lmli.has_dyn_sized_stack, 0
	.set _ZL18rocblas_ger_kernelILi32ELi32ELi2ELb1E19rocblas_complex_numIdES1_PKPKS1_PKPS1_EviiT4_lT5_lllSA_lllT6_lmli.has_recursion, 0
	.set _ZL18rocblas_ger_kernelILi32ELi32ELi2ELb1E19rocblas_complex_numIdES1_PKPKS1_PKPS1_EviiT4_lT5_lllSA_lllT6_lmli.has_indirect_call, 0
	.section	.AMDGPU.csdata,"",@progbits
; Kernel info:
; codeLenInByte = 1172
; TotalNumSgprs: 38
; NumVgprs: 31
; ScratchSize: 0
; MemoryBound: 1
; FloatMode: 240
; IeeeMode: 1
; LDSByteSize: 1536 bytes/workgroup (compile time only)
; SGPRBlocks: 0
; VGPRBlocks: 3
; NumSGPRsForWavesPerEU: 38
; NumVGPRsForWavesPerEU: 31
; Occupancy: 16
; WaveLimiterHint : 1
; COMPUTE_PGM_RSRC2:SCRATCH_EN: 0
; COMPUTE_PGM_RSRC2:USER_SGPR: 2
; COMPUTE_PGM_RSRC2:TRAP_HANDLER: 0
; COMPUTE_PGM_RSRC2:TGID_X_EN: 1
; COMPUTE_PGM_RSRC2:TGID_Y_EN: 0
; COMPUTE_PGM_RSRC2:TGID_Z_EN: 1
; COMPUTE_PGM_RSRC2:TIDIG_COMP_CNT: 1
	.section	.AMDGPU.gpr_maximums,"",@progbits
	.set amdgpu.max_num_vgpr, 0
	.set amdgpu.max_num_agpr, 0
	.set amdgpu.max_num_sgpr, 0
	.section	.AMDGPU.csdata,"",@progbits
	.type	__hip_cuid_f06d15e14c229106,@object ; @__hip_cuid_f06d15e14c229106
	.section	.bss,"aw",@nobits
	.globl	__hip_cuid_f06d15e14c229106
__hip_cuid_f06d15e14c229106:
	.byte	0                               ; 0x0
	.size	__hip_cuid_f06d15e14c229106, 1

	.ident	"AMD clang version 22.0.0git (https://github.com/RadeonOpenCompute/llvm-project roc-7.2.4 26084 f58b06dce1f9c15707c5f808fd002e18c2accf7e)"
	.section	".note.GNU-stack","",@progbits
	.addrsig
	.addrsig_sym __hip_cuid_f06d15e14c229106
	.amdgpu_metadata
---
amdhsa.kernels:
  - .args:
      - .offset:         0
        .size:           1
        .value_kind:     by_value
      - .offset:         4
        .size:           4
        .value_kind:     by_value
      - .offset:         8
        .size:           4
        .value_kind:     by_value
      - .offset:         16
        .size:           8
        .value_kind:     by_value
      - .offset:         24
        .size:           8
        .value_kind:     by_value
      - .actual_access:  read_only
        .address_space:  global
        .offset:         32
        .size:           8
        .value_kind:     global_buffer
      - .offset:         40
        .size:           8
        .value_kind:     by_value
      - .offset:         48
        .size:           8
        .value_kind:     by_value
      - .offset:         56
        .size:           8
        .value_kind:     by_value
      - .actual_access:  read_only
        .address_space:  global
        .offset:         64
        .size:           8
        .value_kind:     global_buffer
      - .offset:         72
        .size:           8
        .value_kind:     by_value
      - .offset:         80
        .size:           8
        .value_kind:     by_value
      - .offset:         88
        .size:           8
        .value_kind:     by_value
      - .address_space:  global
        .offset:         96
        .size:           8
        .value_kind:     global_buffer
      - .offset:         104
        .size:           8
        .value_kind:     by_value
      - .offset:         112
        .size:           8
        .value_kind:     by_value
      - .offset:         120
        .size:           8
        .value_kind:     by_value
      - .offset:         128
        .size:           4
        .value_kind:     by_value
    .group_segment_fixed_size: 0
    .kernarg_segment_align: 8
    .kernarg_segment_size: 132
    .language:       OpenCL C
    .language_version:
      - 2
      - 0
    .max_flat_workgroup_size: 1024
    .name:           _ZL34rocblas_ger_double_buffered_kernelILb0ELi128ELi8ELi8Ef24rocblas_internal_val_ptrIfEPKfPfEvbiiT4_lT5_lllS6_lllT6_lmli
    .private_segment_fixed_size: 0
    .sgpr_count:     40
    .sgpr_spill_count: 0
    .symbol:         _ZL34rocblas_ger_double_buffered_kernelILb0ELi128ELi8ELi8Ef24rocblas_internal_val_ptrIfEPKfPfEvbiiT4_lT5_lllS6_lllT6_lmli.kd
    .uniform_work_group_size: 1
    .uses_dynamic_stack: false
    .vgpr_count:     64
    .vgpr_spill_count: 0
    .wavefront_size: 32
    .workgroup_processor_mode: 1
  - .args:
      - .offset:         0
        .size:           4
        .value_kind:     by_value
      - .offset:         4
        .size:           4
        .value_kind:     by_value
      - .address_space:  global
        .offset:         8
        .size:           8
        .value_kind:     global_buffer
      - .offset:         16
        .size:           8
        .value_kind:     by_value
      - .address_space:  global
        .offset:         24
        .size:           8
        .value_kind:     global_buffer
      - .offset:         32
        .size:           8
        .value_kind:     by_value
      - .offset:         40
        .size:           8
        .value_kind:     by_value
      - .offset:         48
        .size:           8
        .value_kind:     by_value
      - .address_space:  global
        .offset:         56
        .size:           8
        .value_kind:     global_buffer
      - .offset:         64
        .size:           8
        .value_kind:     by_value
      - .offset:         72
        .size:           8
        .value_kind:     by_value
      - .offset:         80
        .size:           8
        .value_kind:     by_value
      - .address_space:  global
        .offset:         88
        .size:           8
        .value_kind:     global_buffer
      - .offset:         96
        .size:           8
        .value_kind:     by_value
      - .offset:         104
        .size:           8
        .value_kind:     by_value
      - .offset:         112
        .size:           8
        .value_kind:     by_value
    .group_segment_fixed_size: 0
    .kernarg_segment_align: 8
    .kernarg_segment_size: 120
    .language:       OpenCL C
    .language_version:
      - 2
      - 0
    .max_flat_workgroup_size: 256
    .name:           _ZL26rocblas_sger_gfx942_kernelILi256EfPKfS1_PfEviiT1_lT2_lllS4_lllT3_lll
    .private_segment_fixed_size: 0
    .sgpr_count:     0
    .sgpr_spill_count: 0
    .symbol:         _ZL26rocblas_sger_gfx942_kernelILi256EfPKfS1_PfEviiT1_lT2_lllS4_lllT3_lll.kd
    .uniform_work_group_size: 1
    .uses_dynamic_stack: false
    .vgpr_count:     0
    .vgpr_spill_count: 0
    .wavefront_size: 32
    .workgroup_processor_mode: 1
  - .args:
      - .offset:         0
        .size:           4
        .value_kind:     by_value
      - .offset:         4
        .size:           4
        .value_kind:     by_value
      - .offset:         8
        .size:           4
        .value_kind:     by_value
      - .offset:         16
        .size:           8
        .value_kind:     by_value
      - .address_space:  global
        .offset:         24
        .size:           8
        .value_kind:     global_buffer
      - .offset:         32
        .size:           8
        .value_kind:     by_value
      - .offset:         40
        .size:           8
        .value_kind:     by_value
      - .offset:         48
        .size:           8
        .value_kind:     by_value
      - .address_space:  global
        .offset:         56
        .size:           8
        .value_kind:     global_buffer
      - .offset:         64
        .size:           8
        .value_kind:     by_value
      - .offset:         72
        .size:           8
        .value_kind:     by_value
      - .offset:         80
        .size:           8
        .value_kind:     by_value
      - .address_space:  global
        .offset:         88
        .size:           8
        .value_kind:     global_buffer
      - .offset:         96
        .size:           8
        .value_kind:     by_value
      - .offset:         104
        .size:           8
        .value_kind:     by_value
      - .offset:         112
        .size:           8
        .value_kind:     by_value
    .group_segment_fixed_size: 0
    .kernarg_segment_align: 8
    .kernarg_segment_size: 120
    .language:       OpenCL C
    .language_version:
      - 2
      - 0
    .max_flat_workgroup_size: 256
    .name:           _ZL26rocblas_sger_gfx942_kernelILi256EffPKfPfEviiT1_lT2_lllS4_lllT3_lll
    .private_segment_fixed_size: 0
    .sgpr_count:     0
    .sgpr_spill_count: 0
    .symbol:         _ZL26rocblas_sger_gfx942_kernelILi256EffPKfPfEviiT1_lT2_lllS4_lllT3_lll.kd
    .uniform_work_group_size: 1
    .uses_dynamic_stack: false
    .vgpr_count:     0
    .vgpr_spill_count: 0
    .wavefront_size: 32
    .workgroup_processor_mode: 1
  - .args:
      - .offset:         0
        .size:           4
        .value_kind:     by_value
      - .offset:         4
        .size:           4
        .value_kind:     by_value
      - .address_space:  global
        .offset:         8
        .size:           8
        .value_kind:     global_buffer
      - .offset:         16
        .size:           8
        .value_kind:     by_value
      - .actual_access:  read_only
        .address_space:  global
        .offset:         24
        .size:           8
        .value_kind:     global_buffer
      - .offset:         32
        .size:           8
        .value_kind:     by_value
      - .offset:         40
        .size:           8
        .value_kind:     by_value
      - .offset:         48
        .size:           8
        .value_kind:     by_value
      - .actual_access:  read_only
        .address_space:  global
        .offset:         56
        .size:           8
        .value_kind:     global_buffer
      - .offset:         64
        .size:           8
        .value_kind:     by_value
      - .offset:         72
        .size:           8
        .value_kind:     by_value
      - .offset:         80
        .size:           8
        .value_kind:     by_value
      - .address_space:  global
        .offset:         88
        .size:           8
        .value_kind:     global_buffer
      - .offset:         96
        .size:           8
        .value_kind:     by_value
      - .offset:         104
        .size:           8
        .value_kind:     by_value
      - .offset:         112
        .size:           8
        .value_kind:     by_value
      - .offset:         120
        .size:           4
        .value_kind:     by_value
    .group_segment_fixed_size: 0
    .kernarg_segment_align: 8
    .kernarg_segment_size: 124
    .language:       OpenCL C
    .language_version:
      - 2
      - 0
    .max_flat_workgroup_size: 1024
    .name:           _ZL19rocblas_sger_kernelILi1024EfPKfS1_PfEviiT1_lT2_lllS4_lllT3_lmli
    .private_segment_fixed_size: 0
    .sgpr_count:     40
    .sgpr_spill_count: 0
    .symbol:         _ZL19rocblas_sger_kernelILi1024EfPKfS1_PfEviiT1_lT2_lllS4_lllT3_lmli.kd
    .uniform_work_group_size: 1
    .uses_dynamic_stack: false
    .vgpr_count:     12
    .vgpr_spill_count: 0
    .wavefront_size: 32
    .workgroup_processor_mode: 1
  - .args:
      - .offset:         0
        .size:           4
        .value_kind:     by_value
      - .offset:         4
        .size:           4
        .value_kind:     by_value
      - .offset:         8
        .size:           4
        .value_kind:     by_value
      - .offset:         16
        .size:           8
        .value_kind:     by_value
      - .actual_access:  read_only
        .address_space:  global
        .offset:         24
        .size:           8
        .value_kind:     global_buffer
      - .offset:         32
        .size:           8
        .value_kind:     by_value
      - .offset:         40
        .size:           8
        .value_kind:     by_value
      - .offset:         48
        .size:           8
        .value_kind:     by_value
      - .actual_access:  read_only
        .address_space:  global
        .offset:         56
        .size:           8
        .value_kind:     global_buffer
      - .offset:         64
        .size:           8
        .value_kind:     by_value
      - .offset:         72
        .size:           8
        .value_kind:     by_value
      - .offset:         80
        .size:           8
        .value_kind:     by_value
      - .address_space:  global
        .offset:         88
        .size:           8
        .value_kind:     global_buffer
      - .offset:         96
        .size:           8
        .value_kind:     by_value
      - .offset:         104
        .size:           8
        .value_kind:     by_value
      - .offset:         112
        .size:           8
        .value_kind:     by_value
      - .offset:         120
        .size:           4
        .value_kind:     by_value
    .group_segment_fixed_size: 0
    .kernarg_segment_align: 8
    .kernarg_segment_size: 124
    .language:       OpenCL C
    .language_version:
      - 2
      - 0
    .max_flat_workgroup_size: 1024
    .name:           _ZL19rocblas_sger_kernelILi1024EffPKfPfEviiT1_lT2_lllS4_lllT3_lmli
    .private_segment_fixed_size: 0
    .sgpr_count:     38
    .sgpr_spill_count: 0
    .symbol:         _ZL19rocblas_sger_kernelILi1024EffPKfPfEviiT1_lT2_lllS4_lllT3_lmli.kd
    .uniform_work_group_size: 1
    .uses_dynamic_stack: false
    .vgpr_count:     12
    .vgpr_spill_count: 0
    .wavefront_size: 32
    .workgroup_processor_mode: 1
  - .args:
      - .offset:         0
        .size:           4
        .value_kind:     by_value
      - .offset:         4
        .size:           4
        .value_kind:     by_value
      - .address_space:  global
        .offset:         8
        .size:           8
        .value_kind:     global_buffer
      - .offset:         16
        .size:           8
        .value_kind:     by_value
      - .actual_access:  read_only
        .address_space:  global
        .offset:         24
        .size:           8
        .value_kind:     global_buffer
      - .offset:         32
        .size:           8
        .value_kind:     by_value
      - .offset:         40
        .size:           8
        .value_kind:     by_value
      - .offset:         48
        .size:           8
        .value_kind:     by_value
      - .actual_access:  read_only
        .address_space:  global
        .offset:         56
        .size:           8
        .value_kind:     global_buffer
      - .offset:         64
        .size:           8
        .value_kind:     by_value
      - .offset:         72
        .size:           8
        .value_kind:     by_value
      - .offset:         80
        .size:           8
        .value_kind:     by_value
      - .address_space:  global
        .offset:         88
        .size:           8
        .value_kind:     global_buffer
      - .offset:         96
        .size:           8
        .value_kind:     by_value
      - .offset:         104
        .size:           8
        .value_kind:     by_value
      - .offset:         112
        .size:           8
        .value_kind:     by_value
      - .offset:         120
        .size:           4
        .value_kind:     by_value
    .group_segment_fixed_size: 384
    .kernarg_segment_align: 8
    .kernarg_segment_size: 124
    .language:       OpenCL C
    .language_version:
      - 2
      - 0
    .max_flat_workgroup_size: 1024
    .name:           _ZL18rocblas_ger_kernelILi32ELi32ELi2ELb0EfPKfS1_PfEviiT4_lT5_lllS4_lllT6_lmli
    .private_segment_fixed_size: 0
    .sgpr_count:     42
    .sgpr_spill_count: 0
    .symbol:         _ZL18rocblas_ger_kernelILi32ELi32ELi2ELb0EfPKfS1_PfEviiT4_lT5_lllS4_lllT6_lmli.kd
    .uniform_work_group_size: 1
    .uses_dynamic_stack: false
    .vgpr_count:     22
    .vgpr_spill_count: 0
    .wavefront_size: 32
    .workgroup_processor_mode: 1
  - .args:
      - .offset:         0
        .size:           4
        .value_kind:     by_value
      - .offset:         4
        .size:           4
        .value_kind:     by_value
      - .offset:         8
        .size:           4
        .value_kind:     by_value
      - .offset:         16
        .size:           8
        .value_kind:     by_value
      - .actual_access:  read_only
        .address_space:  global
        .offset:         24
        .size:           8
        .value_kind:     global_buffer
      - .offset:         32
        .size:           8
        .value_kind:     by_value
      - .offset:         40
        .size:           8
        .value_kind:     by_value
      - .offset:         48
        .size:           8
        .value_kind:     by_value
      - .actual_access:  read_only
        .address_space:  global
        .offset:         56
        .size:           8
        .value_kind:     global_buffer
      - .offset:         64
        .size:           8
        .value_kind:     by_value
      - .offset:         72
        .size:           8
        .value_kind:     by_value
      - .offset:         80
        .size:           8
        .value_kind:     by_value
      - .address_space:  global
        .offset:         88
        .size:           8
        .value_kind:     global_buffer
      - .offset:         96
        .size:           8
        .value_kind:     by_value
      - .offset:         104
        .size:           8
        .value_kind:     by_value
      - .offset:         112
        .size:           8
        .value_kind:     by_value
      - .offset:         120
        .size:           4
        .value_kind:     by_value
    .group_segment_fixed_size: 384
    .kernarg_segment_align: 8
    .kernarg_segment_size: 124
    .language:       OpenCL C
    .language_version:
      - 2
      - 0
    .max_flat_workgroup_size: 1024
    .name:           _ZL18rocblas_ger_kernelILi32ELi32ELi2ELb0EffPKfPfEviiT4_lT5_lllS4_lllT6_lmli
    .private_segment_fixed_size: 0
    .sgpr_count:     39
    .sgpr_spill_count: 0
    .symbol:         _ZL18rocblas_ger_kernelILi32ELi32ELi2ELb0EffPKfPfEviiT4_lT5_lllS4_lllT6_lmli.kd
    .uniform_work_group_size: 1
    .uses_dynamic_stack: false
    .vgpr_count:     22
    .vgpr_spill_count: 0
    .wavefront_size: 32
    .workgroup_processor_mode: 1
  - .args:
      - .offset:         0
        .size:           1
        .value_kind:     by_value
      - .offset:         4
        .size:           4
        .value_kind:     by_value
      - .offset:         8
        .size:           4
        .value_kind:     by_value
      - .offset:         16
        .size:           8
        .value_kind:     by_value
      - .offset:         24
        .size:           8
        .value_kind:     by_value
      - .actual_access:  read_only
        .address_space:  global
        .offset:         32
        .size:           8
        .value_kind:     global_buffer
      - .offset:         40
        .size:           8
        .value_kind:     by_value
      - .offset:         48
        .size:           8
        .value_kind:     by_value
      - .offset:         56
        .size:           8
        .value_kind:     by_value
      - .actual_access:  read_only
        .address_space:  global
        .offset:         64
        .size:           8
        .value_kind:     global_buffer
      - .offset:         72
        .size:           8
        .value_kind:     by_value
      - .offset:         80
        .size:           8
        .value_kind:     by_value
      - .offset:         88
        .size:           8
        .value_kind:     by_value
      - .address_space:  global
        .offset:         96
        .size:           8
        .value_kind:     global_buffer
      - .offset:         104
        .size:           8
        .value_kind:     by_value
      - .offset:         112
        .size:           8
        .value_kind:     by_value
      - .offset:         120
        .size:           8
        .value_kind:     by_value
      - .offset:         128
        .size:           4
        .value_kind:     by_value
    .group_segment_fixed_size: 0
    .kernarg_segment_align: 8
    .kernarg_segment_size: 132
    .language:       OpenCL C
    .language_version:
      - 2
      - 0
    .max_flat_workgroup_size: 1024
    .name:           _ZL34rocblas_ger_double_buffered_kernelILb0ELi64ELi16ELi2Ed24rocblas_internal_val_ptrIdEPKdPdEvbiiT4_lT5_lllS6_lllT6_lmli
    .private_segment_fixed_size: 0
    .sgpr_count:     38
    .sgpr_spill_count: 0
    .symbol:         _ZL34rocblas_ger_double_buffered_kernelILb0ELi64ELi16ELi2Ed24rocblas_internal_val_ptrIdEPKdPdEvbiiT4_lT5_lllS6_lllT6_lmli.kd
    .uniform_work_group_size: 1
    .uses_dynamic_stack: false
    .vgpr_count:     32
    .vgpr_spill_count: 0
    .wavefront_size: 32
    .workgroup_processor_mode: 1
  - .args:
      - .offset:         0
        .size:           4
        .value_kind:     by_value
      - .offset:         4
        .size:           4
        .value_kind:     by_value
      - .address_space:  global
        .offset:         8
        .size:           8
        .value_kind:     global_buffer
      - .offset:         16
        .size:           8
        .value_kind:     by_value
      - .address_space:  global
        .offset:         24
        .size:           8
        .value_kind:     global_buffer
      - .offset:         32
        .size:           8
        .value_kind:     by_value
      - .offset:         40
        .size:           8
        .value_kind:     by_value
      - .offset:         48
        .size:           8
        .value_kind:     by_value
      - .address_space:  global
        .offset:         56
        .size:           8
        .value_kind:     global_buffer
      - .offset:         64
        .size:           8
        .value_kind:     by_value
      - .offset:         72
        .size:           8
        .value_kind:     by_value
      - .offset:         80
        .size:           8
        .value_kind:     by_value
      - .address_space:  global
        .offset:         88
        .size:           8
        .value_kind:     global_buffer
      - .offset:         96
        .size:           8
        .value_kind:     by_value
      - .offset:         104
        .size:           8
        .value_kind:     by_value
      - .offset:         112
        .size:           8
        .value_kind:     by_value
    .group_segment_fixed_size: 0
    .kernarg_segment_align: 8
    .kernarg_segment_size: 120
    .language:       OpenCL C
    .language_version:
      - 2
      - 0
    .max_flat_workgroup_size: 256
    .name:           _ZL26rocblas_sger_gfx942_kernelILi256EdPKdS1_PdEviiT1_lT2_lllS4_lllT3_lll
    .private_segment_fixed_size: 0
    .sgpr_count:     0
    .sgpr_spill_count: 0
    .symbol:         _ZL26rocblas_sger_gfx942_kernelILi256EdPKdS1_PdEviiT1_lT2_lllS4_lllT3_lll.kd
    .uniform_work_group_size: 1
    .uses_dynamic_stack: false
    .vgpr_count:     0
    .vgpr_spill_count: 0
    .wavefront_size: 32
    .workgroup_processor_mode: 1
  - .args:
      - .offset:         0
        .size:           4
        .value_kind:     by_value
      - .offset:         4
        .size:           4
        .value_kind:     by_value
      - .offset:         8
        .size:           8
        .value_kind:     by_value
      - .offset:         16
        .size:           8
        .value_kind:     by_value
      - .address_space:  global
        .offset:         24
        .size:           8
        .value_kind:     global_buffer
      - .offset:         32
        .size:           8
        .value_kind:     by_value
      - .offset:         40
        .size:           8
        .value_kind:     by_value
      - .offset:         48
        .size:           8
        .value_kind:     by_value
      - .address_space:  global
        .offset:         56
        .size:           8
        .value_kind:     global_buffer
      - .offset:         64
        .size:           8
        .value_kind:     by_value
      - .offset:         72
        .size:           8
        .value_kind:     by_value
      - .offset:         80
        .size:           8
        .value_kind:     by_value
      - .address_space:  global
        .offset:         88
        .size:           8
        .value_kind:     global_buffer
      - .offset:         96
        .size:           8
        .value_kind:     by_value
      - .offset:         104
        .size:           8
        .value_kind:     by_value
      - .offset:         112
        .size:           8
        .value_kind:     by_value
    .group_segment_fixed_size: 0
    .kernarg_segment_align: 8
    .kernarg_segment_size: 120
    .language:       OpenCL C
    .language_version:
      - 2
      - 0
    .max_flat_workgroup_size: 256
    .name:           _ZL26rocblas_sger_gfx942_kernelILi256EddPKdPdEviiT1_lT2_lllS4_lllT3_lll
    .private_segment_fixed_size: 0
    .sgpr_count:     0
    .sgpr_spill_count: 0
    .symbol:         _ZL26rocblas_sger_gfx942_kernelILi256EddPKdPdEviiT1_lT2_lllS4_lllT3_lll.kd
    .uniform_work_group_size: 1
    .uses_dynamic_stack: false
    .vgpr_count:     0
    .vgpr_spill_count: 0
    .wavefront_size: 32
    .workgroup_processor_mode: 1
  - .args:
      - .offset:         0
        .size:           4
        .value_kind:     by_value
      - .offset:         4
        .size:           4
        .value_kind:     by_value
      - .address_space:  global
        .offset:         8
        .size:           8
        .value_kind:     global_buffer
      - .offset:         16
        .size:           8
        .value_kind:     by_value
      - .actual_access:  read_only
        .address_space:  global
        .offset:         24
        .size:           8
        .value_kind:     global_buffer
      - .offset:         32
        .size:           8
        .value_kind:     by_value
      - .offset:         40
        .size:           8
        .value_kind:     by_value
      - .offset:         48
        .size:           8
        .value_kind:     by_value
      - .actual_access:  read_only
        .address_space:  global
        .offset:         56
        .size:           8
        .value_kind:     global_buffer
      - .offset:         64
        .size:           8
        .value_kind:     by_value
      - .offset:         72
        .size:           8
        .value_kind:     by_value
      - .offset:         80
        .size:           8
        .value_kind:     by_value
      - .address_space:  global
        .offset:         88
        .size:           8
        .value_kind:     global_buffer
      - .offset:         96
        .size:           8
        .value_kind:     by_value
      - .offset:         104
        .size:           8
        .value_kind:     by_value
      - .offset:         112
        .size:           8
        .value_kind:     by_value
      - .offset:         120
        .size:           4
        .value_kind:     by_value
    .group_segment_fixed_size: 0
    .kernarg_segment_align: 8
    .kernarg_segment_size: 124
    .language:       OpenCL C
    .language_version:
      - 2
      - 0
    .max_flat_workgroup_size: 1024
    .name:           _ZL19rocblas_sger_kernelILi1024EdPKdS1_PdEviiT1_lT2_lllS4_lllT3_lmli
    .private_segment_fixed_size: 0
    .sgpr_count:     40
    .sgpr_spill_count: 0
    .symbol:         _ZL19rocblas_sger_kernelILi1024EdPKdS1_PdEviiT1_lT2_lllS4_lllT3_lmli.kd
    .uniform_work_group_size: 1
    .uses_dynamic_stack: false
    .vgpr_count:     16
    .vgpr_spill_count: 0
    .wavefront_size: 32
    .workgroup_processor_mode: 1
  - .args:
      - .offset:         0
        .size:           4
        .value_kind:     by_value
      - .offset:         4
        .size:           4
        .value_kind:     by_value
      - .offset:         8
        .size:           8
        .value_kind:     by_value
      - .offset:         16
        .size:           8
        .value_kind:     by_value
      - .actual_access:  read_only
        .address_space:  global
        .offset:         24
        .size:           8
        .value_kind:     global_buffer
      - .offset:         32
        .size:           8
        .value_kind:     by_value
      - .offset:         40
        .size:           8
        .value_kind:     by_value
      - .offset:         48
        .size:           8
        .value_kind:     by_value
      - .actual_access:  read_only
        .address_space:  global
        .offset:         56
        .size:           8
        .value_kind:     global_buffer
      - .offset:         64
        .size:           8
        .value_kind:     by_value
      - .offset:         72
        .size:           8
        .value_kind:     by_value
      - .offset:         80
        .size:           8
        .value_kind:     by_value
      - .address_space:  global
        .offset:         88
        .size:           8
        .value_kind:     global_buffer
      - .offset:         96
        .size:           8
        .value_kind:     by_value
      - .offset:         104
        .size:           8
        .value_kind:     by_value
      - .offset:         112
        .size:           8
        .value_kind:     by_value
      - .offset:         120
        .size:           4
        .value_kind:     by_value
    .group_segment_fixed_size: 0
    .kernarg_segment_align: 8
    .kernarg_segment_size: 124
    .language:       OpenCL C
    .language_version:
      - 2
      - 0
    .max_flat_workgroup_size: 1024
    .name:           _ZL19rocblas_sger_kernelILi1024EddPKdPdEviiT1_lT2_lllS4_lllT3_lmli
    .private_segment_fixed_size: 0
    .sgpr_count:     38
    .sgpr_spill_count: 0
    .symbol:         _ZL19rocblas_sger_kernelILi1024EddPKdPdEviiT1_lT2_lllS4_lllT3_lmli.kd
    .uniform_work_group_size: 1
    .uses_dynamic_stack: false
    .vgpr_count:     16
    .vgpr_spill_count: 0
    .wavefront_size: 32
    .workgroup_processor_mode: 1
  - .args:
      - .offset:         0
        .size:           4
        .value_kind:     by_value
      - .offset:         4
        .size:           4
        .value_kind:     by_value
      - .address_space:  global
        .offset:         8
        .size:           8
        .value_kind:     global_buffer
      - .offset:         16
        .size:           8
        .value_kind:     by_value
      - .actual_access:  read_only
        .address_space:  global
        .offset:         24
        .size:           8
        .value_kind:     global_buffer
      - .offset:         32
        .size:           8
        .value_kind:     by_value
      - .offset:         40
        .size:           8
        .value_kind:     by_value
      - .offset:         48
        .size:           8
        .value_kind:     by_value
      - .actual_access:  read_only
        .address_space:  global
        .offset:         56
        .size:           8
        .value_kind:     global_buffer
      - .offset:         64
        .size:           8
        .value_kind:     by_value
      - .offset:         72
        .size:           8
        .value_kind:     by_value
      - .offset:         80
        .size:           8
        .value_kind:     by_value
      - .address_space:  global
        .offset:         88
        .size:           8
        .value_kind:     global_buffer
      - .offset:         96
        .size:           8
        .value_kind:     by_value
      - .offset:         104
        .size:           8
        .value_kind:     by_value
      - .offset:         112
        .size:           8
        .value_kind:     by_value
      - .offset:         120
        .size:           4
        .value_kind:     by_value
    .group_segment_fixed_size: 768
    .kernarg_segment_align: 8
    .kernarg_segment_size: 124
    .language:       OpenCL C
    .language_version:
      - 2
      - 0
    .max_flat_workgroup_size: 1024
    .name:           _ZL18rocblas_ger_kernelILi32ELi32ELi2ELb0EdPKdS1_PdEviiT4_lT5_lllS4_lllT6_lmli
    .private_segment_fixed_size: 0
    .sgpr_count:     42
    .sgpr_spill_count: 0
    .symbol:         _ZL18rocblas_ger_kernelILi32ELi32ELi2ELb0EdPKdS1_PdEviiT4_lT5_lllS4_lllT6_lmli.kd
    .uniform_work_group_size: 1
    .uses_dynamic_stack: false
    .vgpr_count:     24
    .vgpr_spill_count: 0
    .wavefront_size: 32
    .workgroup_processor_mode: 1
  - .args:
      - .offset:         0
        .size:           4
        .value_kind:     by_value
      - .offset:         4
        .size:           4
        .value_kind:     by_value
      - .offset:         8
        .size:           8
        .value_kind:     by_value
      - .offset:         16
        .size:           8
        .value_kind:     by_value
      - .actual_access:  read_only
        .address_space:  global
        .offset:         24
        .size:           8
        .value_kind:     global_buffer
      - .offset:         32
        .size:           8
        .value_kind:     by_value
      - .offset:         40
        .size:           8
        .value_kind:     by_value
      - .offset:         48
        .size:           8
        .value_kind:     by_value
      - .actual_access:  read_only
        .address_space:  global
        .offset:         56
        .size:           8
        .value_kind:     global_buffer
      - .offset:         64
        .size:           8
        .value_kind:     by_value
      - .offset:         72
        .size:           8
        .value_kind:     by_value
      - .offset:         80
        .size:           8
        .value_kind:     by_value
      - .address_space:  global
        .offset:         88
        .size:           8
        .value_kind:     global_buffer
      - .offset:         96
        .size:           8
        .value_kind:     by_value
      - .offset:         104
        .size:           8
        .value_kind:     by_value
      - .offset:         112
        .size:           8
        .value_kind:     by_value
      - .offset:         120
        .size:           4
        .value_kind:     by_value
    .group_segment_fixed_size: 768
    .kernarg_segment_align: 8
    .kernarg_segment_size: 124
    .language:       OpenCL C
    .language_version:
      - 2
      - 0
    .max_flat_workgroup_size: 1024
    .name:           _ZL18rocblas_ger_kernelILi32ELi32ELi2ELb0EddPKdPdEviiT4_lT5_lllS4_lllT6_lmli
    .private_segment_fixed_size: 0
    .sgpr_count:     40
    .sgpr_spill_count: 0
    .symbol:         _ZL18rocblas_ger_kernelILi32ELi32ELi2ELb0EddPKdPdEviiT4_lT5_lllS4_lllT6_lmli.kd
    .uniform_work_group_size: 1
    .uses_dynamic_stack: false
    .vgpr_count:     23
    .vgpr_spill_count: 0
    .wavefront_size: 32
    .workgroup_processor_mode: 1
  - .args:
      - .offset:         0
        .size:           1
        .value_kind:     by_value
      - .offset:         4
        .size:           4
        .value_kind:     by_value
      - .offset:         8
        .size:           4
        .value_kind:     by_value
      - .offset:         16
        .size:           8
        .value_kind:     by_value
      - .offset:         24
        .size:           8
        .value_kind:     by_value
      - .actual_access:  read_only
        .address_space:  global
        .offset:         32
        .size:           8
        .value_kind:     global_buffer
      - .offset:         40
        .size:           8
        .value_kind:     by_value
      - .offset:         48
        .size:           8
        .value_kind:     by_value
      - .offset:         56
        .size:           8
        .value_kind:     by_value
      - .actual_access:  read_only
        .address_space:  global
        .offset:         64
        .size:           8
        .value_kind:     global_buffer
      - .offset:         72
        .size:           8
        .value_kind:     by_value
      - .offset:         80
        .size:           8
        .value_kind:     by_value
      - .offset:         88
        .size:           8
        .value_kind:     by_value
      - .address_space:  global
        .offset:         96
        .size:           8
        .value_kind:     global_buffer
      - .offset:         104
        .size:           8
        .value_kind:     by_value
      - .offset:         112
        .size:           8
        .value_kind:     by_value
      - .offset:         120
        .size:           8
        .value_kind:     by_value
      - .offset:         128
        .size:           4
        .value_kind:     by_value
    .group_segment_fixed_size: 0
    .kernarg_segment_align: 8
    .kernarg_segment_size: 132
    .language:       OpenCL C
    .language_version:
      - 2
      - 0
    .max_flat_workgroup_size: 1024
    .name:           _ZL34rocblas_ger_double_buffered_kernelILb0ELi64ELi16ELi2E19rocblas_complex_numIfE24rocblas_internal_val_ptrIS1_EPKS1_PS1_EvbiiT4_lT5_lllS8_lllT6_lmli
    .private_segment_fixed_size: 0
    .sgpr_count:     38
    .sgpr_spill_count: 0
    .symbol:         _ZL34rocblas_ger_double_buffered_kernelILb0ELi64ELi16ELi2E19rocblas_complex_numIfE24rocblas_internal_val_ptrIS1_EPKS1_PS1_EvbiiT4_lT5_lllS8_lllT6_lmli.kd
    .uniform_work_group_size: 1
    .uses_dynamic_stack: false
    .vgpr_count:     36
    .vgpr_spill_count: 0
    .wavefront_size: 32
    .workgroup_processor_mode: 1
  - .args:
      - .offset:         0
        .size:           4
        .value_kind:     by_value
      - .offset:         4
        .size:           4
        .value_kind:     by_value
      - .address_space:  global
        .offset:         8
        .size:           8
        .value_kind:     global_buffer
      - .offset:         16
        .size:           8
        .value_kind:     by_value
      - .address_space:  global
        .offset:         24
        .size:           8
        .value_kind:     global_buffer
      - .offset:         32
        .size:           8
        .value_kind:     by_value
      - .offset:         40
        .size:           8
        .value_kind:     by_value
      - .offset:         48
        .size:           8
        .value_kind:     by_value
      - .address_space:  global
        .offset:         56
        .size:           8
        .value_kind:     global_buffer
      - .offset:         64
        .size:           8
        .value_kind:     by_value
      - .offset:         72
        .size:           8
        .value_kind:     by_value
      - .offset:         80
        .size:           8
        .value_kind:     by_value
      - .address_space:  global
        .offset:         88
        .size:           8
        .value_kind:     global_buffer
      - .offset:         96
        .size:           8
        .value_kind:     by_value
      - .offset:         104
        .size:           8
        .value_kind:     by_value
      - .offset:         112
        .size:           8
        .value_kind:     by_value
    .group_segment_fixed_size: 0
    .kernarg_segment_align: 8
    .kernarg_segment_size: 120
    .language:       OpenCL C
    .language_version:
      - 2
      - 0
    .max_flat_workgroup_size: 256
    .name:           _ZL26rocblas_sger_gfx942_kernelILi256E19rocblas_complex_numIfEPKS1_S3_PS1_EviiT1_lT2_lllS6_lllT3_lll
    .private_segment_fixed_size: 0
    .sgpr_count:     0
    .sgpr_spill_count: 0
    .symbol:         _ZL26rocblas_sger_gfx942_kernelILi256E19rocblas_complex_numIfEPKS1_S3_PS1_EviiT1_lT2_lllS6_lllT3_lll.kd
    .uniform_work_group_size: 1
    .uses_dynamic_stack: false
    .vgpr_count:     0
    .vgpr_spill_count: 0
    .wavefront_size: 32
    .workgroup_processor_mode: 1
  - .args:
      - .offset:         0
        .size:           4
        .value_kind:     by_value
      - .offset:         4
        .size:           4
        .value_kind:     by_value
      - .offset:         8
        .size:           8
        .value_kind:     by_value
      - .offset:         16
        .size:           8
        .value_kind:     by_value
      - .address_space:  global
        .offset:         24
        .size:           8
        .value_kind:     global_buffer
      - .offset:         32
        .size:           8
        .value_kind:     by_value
      - .offset:         40
        .size:           8
        .value_kind:     by_value
      - .offset:         48
        .size:           8
        .value_kind:     by_value
      - .address_space:  global
        .offset:         56
        .size:           8
        .value_kind:     global_buffer
      - .offset:         64
        .size:           8
        .value_kind:     by_value
      - .offset:         72
        .size:           8
        .value_kind:     by_value
      - .offset:         80
        .size:           8
        .value_kind:     by_value
      - .address_space:  global
        .offset:         88
        .size:           8
        .value_kind:     global_buffer
      - .offset:         96
        .size:           8
        .value_kind:     by_value
      - .offset:         104
        .size:           8
        .value_kind:     by_value
      - .offset:         112
        .size:           8
        .value_kind:     by_value
    .group_segment_fixed_size: 0
    .kernarg_segment_align: 8
    .kernarg_segment_size: 120
    .language:       OpenCL C
    .language_version:
      - 2
      - 0
    .max_flat_workgroup_size: 256
    .name:           _ZL26rocblas_sger_gfx942_kernelILi256E19rocblas_complex_numIfES1_PKS1_PS1_EviiT1_lT2_lllS6_lllT3_lll
    .private_segment_fixed_size: 0
    .sgpr_count:     0
    .sgpr_spill_count: 0
    .symbol:         _ZL26rocblas_sger_gfx942_kernelILi256E19rocblas_complex_numIfES1_PKS1_PS1_EviiT1_lT2_lllS6_lllT3_lll.kd
    .uniform_work_group_size: 1
    .uses_dynamic_stack: false
    .vgpr_count:     0
    .vgpr_spill_count: 0
    .wavefront_size: 32
    .workgroup_processor_mode: 1
  - .args:
      - .offset:         0
        .size:           4
        .value_kind:     by_value
      - .offset:         4
        .size:           4
        .value_kind:     by_value
      - .address_space:  global
        .offset:         8
        .size:           8
        .value_kind:     global_buffer
      - .offset:         16
        .size:           8
        .value_kind:     by_value
      - .actual_access:  read_only
        .address_space:  global
        .offset:         24
        .size:           8
        .value_kind:     global_buffer
      - .offset:         32
        .size:           8
        .value_kind:     by_value
      - .offset:         40
        .size:           8
        .value_kind:     by_value
      - .offset:         48
        .size:           8
        .value_kind:     by_value
      - .actual_access:  read_only
        .address_space:  global
        .offset:         56
        .size:           8
        .value_kind:     global_buffer
      - .offset:         64
        .size:           8
        .value_kind:     by_value
      - .offset:         72
        .size:           8
        .value_kind:     by_value
      - .offset:         80
        .size:           8
        .value_kind:     by_value
      - .address_space:  global
        .offset:         88
        .size:           8
        .value_kind:     global_buffer
      - .offset:         96
        .size:           8
        .value_kind:     by_value
      - .offset:         104
        .size:           8
        .value_kind:     by_value
      - .offset:         112
        .size:           8
        .value_kind:     by_value
      - .offset:         120
        .size:           4
        .value_kind:     by_value
    .group_segment_fixed_size: 0
    .kernarg_segment_align: 8
    .kernarg_segment_size: 124
    .language:       OpenCL C
    .language_version:
      - 2
      - 0
    .max_flat_workgroup_size: 1024
    .name:           _ZL19rocblas_sger_kernelILi1024E19rocblas_complex_numIfEPKS1_S3_PS1_EviiT1_lT2_lllS6_lllT3_lmli
    .private_segment_fixed_size: 0
    .sgpr_count:     40
    .sgpr_spill_count: 0
    .symbol:         _ZL19rocblas_sger_kernelILi1024E19rocblas_complex_numIfEPKS1_S3_PS1_EviiT1_lT2_lllS6_lllT3_lmli.kd
    .uniform_work_group_size: 1
    .uses_dynamic_stack: false
    .vgpr_count:     15
    .vgpr_spill_count: 0
    .wavefront_size: 32
    .workgroup_processor_mode: 1
  - .args:
      - .offset:         0
        .size:           4
        .value_kind:     by_value
      - .offset:         4
        .size:           4
        .value_kind:     by_value
      - .offset:         8
        .size:           8
        .value_kind:     by_value
      - .offset:         16
        .size:           8
        .value_kind:     by_value
      - .actual_access:  read_only
        .address_space:  global
        .offset:         24
        .size:           8
        .value_kind:     global_buffer
      - .offset:         32
        .size:           8
        .value_kind:     by_value
      - .offset:         40
        .size:           8
        .value_kind:     by_value
      - .offset:         48
        .size:           8
        .value_kind:     by_value
      - .actual_access:  read_only
        .address_space:  global
        .offset:         56
        .size:           8
        .value_kind:     global_buffer
      - .offset:         64
        .size:           8
        .value_kind:     by_value
      - .offset:         72
        .size:           8
        .value_kind:     by_value
      - .offset:         80
        .size:           8
        .value_kind:     by_value
      - .address_space:  global
        .offset:         88
        .size:           8
        .value_kind:     global_buffer
      - .offset:         96
        .size:           8
        .value_kind:     by_value
      - .offset:         104
        .size:           8
        .value_kind:     by_value
      - .offset:         112
        .size:           8
        .value_kind:     by_value
      - .offset:         120
        .size:           4
        .value_kind:     by_value
    .group_segment_fixed_size: 0
    .kernarg_segment_align: 8
    .kernarg_segment_size: 124
    .language:       OpenCL C
    .language_version:
      - 2
      - 0
    .max_flat_workgroup_size: 1024
    .name:           _ZL19rocblas_sger_kernelILi1024E19rocblas_complex_numIfES1_PKS1_PS1_EviiT1_lT2_lllS6_lllT3_lmli
    .private_segment_fixed_size: 0
    .sgpr_count:     38
    .sgpr_spill_count: 0
    .symbol:         _ZL19rocblas_sger_kernelILi1024E19rocblas_complex_numIfES1_PKS1_PS1_EviiT1_lT2_lllS6_lllT3_lmli.kd
    .uniform_work_group_size: 1
    .uses_dynamic_stack: false
    .vgpr_count:     15
    .vgpr_spill_count: 0
    .wavefront_size: 32
    .workgroup_processor_mode: 1
  - .args:
      - .offset:         0
        .size:           4
        .value_kind:     by_value
      - .offset:         4
        .size:           4
        .value_kind:     by_value
      - .address_space:  global
        .offset:         8
        .size:           8
        .value_kind:     global_buffer
      - .offset:         16
        .size:           8
        .value_kind:     by_value
      - .actual_access:  read_only
        .address_space:  global
        .offset:         24
        .size:           8
        .value_kind:     global_buffer
      - .offset:         32
        .size:           8
        .value_kind:     by_value
      - .offset:         40
        .size:           8
        .value_kind:     by_value
      - .offset:         48
        .size:           8
        .value_kind:     by_value
      - .actual_access:  read_only
        .address_space:  global
        .offset:         56
        .size:           8
        .value_kind:     global_buffer
      - .offset:         64
        .size:           8
        .value_kind:     by_value
      - .offset:         72
        .size:           8
        .value_kind:     by_value
      - .offset:         80
        .size:           8
        .value_kind:     by_value
      - .address_space:  global
        .offset:         88
        .size:           8
        .value_kind:     global_buffer
      - .offset:         96
        .size:           8
        .value_kind:     by_value
      - .offset:         104
        .size:           8
        .value_kind:     by_value
      - .offset:         112
        .size:           8
        .value_kind:     by_value
      - .offset:         120
        .size:           4
        .value_kind:     by_value
    .group_segment_fixed_size: 768
    .kernarg_segment_align: 8
    .kernarg_segment_size: 124
    .language:       OpenCL C
    .language_version:
      - 2
      - 0
    .max_flat_workgroup_size: 1024
    .name:           _ZL18rocblas_ger_kernelILi32ELi32ELi2ELb0E19rocblas_complex_numIfEPKS1_S3_PS1_EviiT4_lT5_lllS6_lllT6_lmli
    .private_segment_fixed_size: 0
    .sgpr_count:     42
    .sgpr_spill_count: 0
    .symbol:         _ZL18rocblas_ger_kernelILi32ELi32ELi2ELb0E19rocblas_complex_numIfEPKS1_S3_PS1_EviiT4_lT5_lllS6_lllT6_lmli.kd
    .uniform_work_group_size: 1
    .uses_dynamic_stack: false
    .vgpr_count:     25
    .vgpr_spill_count: 0
    .wavefront_size: 32
    .workgroup_processor_mode: 1
  - .args:
      - .offset:         0
        .size:           4
        .value_kind:     by_value
      - .offset:         4
        .size:           4
        .value_kind:     by_value
      - .offset:         8
        .size:           8
        .value_kind:     by_value
      - .offset:         16
        .size:           8
        .value_kind:     by_value
      - .actual_access:  read_only
        .address_space:  global
        .offset:         24
        .size:           8
        .value_kind:     global_buffer
      - .offset:         32
        .size:           8
        .value_kind:     by_value
      - .offset:         40
        .size:           8
        .value_kind:     by_value
      - .offset:         48
        .size:           8
        .value_kind:     by_value
      - .actual_access:  read_only
        .address_space:  global
        .offset:         56
        .size:           8
        .value_kind:     global_buffer
      - .offset:         64
        .size:           8
        .value_kind:     by_value
      - .offset:         72
        .size:           8
        .value_kind:     by_value
      - .offset:         80
        .size:           8
        .value_kind:     by_value
      - .address_space:  global
        .offset:         88
        .size:           8
        .value_kind:     global_buffer
      - .offset:         96
        .size:           8
        .value_kind:     by_value
      - .offset:         104
        .size:           8
        .value_kind:     by_value
      - .offset:         112
        .size:           8
        .value_kind:     by_value
      - .offset:         120
        .size:           4
        .value_kind:     by_value
    .group_segment_fixed_size: 768
    .kernarg_segment_align: 8
    .kernarg_segment_size: 124
    .language:       OpenCL C
    .language_version:
      - 2
      - 0
    .max_flat_workgroup_size: 1024
    .name:           _ZL18rocblas_ger_kernelILi32ELi32ELi2ELb0E19rocblas_complex_numIfES1_PKS1_PS1_EviiT4_lT5_lllS6_lllT6_lmli
    .private_segment_fixed_size: 0
    .sgpr_count:     40
    .sgpr_spill_count: 0
    .symbol:         _ZL18rocblas_ger_kernelILi32ELi32ELi2ELb0E19rocblas_complex_numIfES1_PKS1_PS1_EviiT4_lT5_lllS6_lllT6_lmli.kd
    .uniform_work_group_size: 1
    .uses_dynamic_stack: false
    .vgpr_count:     24
    .vgpr_spill_count: 0
    .wavefront_size: 32
    .workgroup_processor_mode: 1
  - .args:
      - .offset:         0
        .size:           1
        .value_kind:     by_value
      - .offset:         4
        .size:           4
        .value_kind:     by_value
      - .offset:         8
        .size:           4
        .value_kind:     by_value
      - .offset:         16
        .size:           16
        .value_kind:     by_value
      - .offset:         32
        .size:           8
        .value_kind:     by_value
      - .actual_access:  read_only
        .address_space:  global
        .offset:         40
        .size:           8
        .value_kind:     global_buffer
      - .offset:         48
        .size:           8
        .value_kind:     by_value
      - .offset:         56
        .size:           8
        .value_kind:     by_value
      - .offset:         64
        .size:           8
        .value_kind:     by_value
      - .actual_access:  read_only
        .address_space:  global
        .offset:         72
        .size:           8
        .value_kind:     global_buffer
      - .offset:         80
        .size:           8
        .value_kind:     by_value
      - .offset:         88
        .size:           8
        .value_kind:     by_value
      - .offset:         96
        .size:           8
        .value_kind:     by_value
      - .address_space:  global
        .offset:         104
        .size:           8
        .value_kind:     global_buffer
      - .offset:         112
        .size:           8
        .value_kind:     by_value
      - .offset:         120
        .size:           8
        .value_kind:     by_value
      - .offset:         128
        .size:           8
        .value_kind:     by_value
      - .offset:         136
        .size:           4
        .value_kind:     by_value
    .group_segment_fixed_size: 0
    .kernarg_segment_align: 8
    .kernarg_segment_size: 140
    .language:       OpenCL C
    .language_version:
      - 2
      - 0
    .max_flat_workgroup_size: 1024
    .name:           _ZL34rocblas_ger_double_buffered_kernelILb0ELi64ELi16ELi2E19rocblas_complex_numIdE24rocblas_internal_val_ptrIS1_EPKS1_PS1_EvbiiT4_lT5_lllS8_lllT6_lmli
    .private_segment_fixed_size: 0
    .sgpr_count:     41
    .sgpr_spill_count: 0
    .symbol:         _ZL34rocblas_ger_double_buffered_kernelILb0ELi64ELi16ELi2E19rocblas_complex_numIdE24rocblas_internal_val_ptrIS1_EPKS1_PS1_EvbiiT4_lT5_lllS8_lllT6_lmli.kd
    .uniform_work_group_size: 1
    .uses_dynamic_stack: false
    .vgpr_count:     58
    .vgpr_spill_count: 0
    .wavefront_size: 32
    .workgroup_processor_mode: 1
  - .args:
      - .offset:         0
        .size:           4
        .value_kind:     by_value
      - .offset:         4
        .size:           4
        .value_kind:     by_value
      - .address_space:  global
        .offset:         8
        .size:           8
        .value_kind:     global_buffer
      - .offset:         16
        .size:           8
        .value_kind:     by_value
      - .address_space:  global
        .offset:         24
        .size:           8
        .value_kind:     global_buffer
      - .offset:         32
        .size:           8
        .value_kind:     by_value
      - .offset:         40
        .size:           8
        .value_kind:     by_value
      - .offset:         48
        .size:           8
        .value_kind:     by_value
      - .address_space:  global
        .offset:         56
        .size:           8
        .value_kind:     global_buffer
      - .offset:         64
        .size:           8
        .value_kind:     by_value
      - .offset:         72
        .size:           8
        .value_kind:     by_value
      - .offset:         80
        .size:           8
        .value_kind:     by_value
      - .address_space:  global
        .offset:         88
        .size:           8
        .value_kind:     global_buffer
      - .offset:         96
        .size:           8
        .value_kind:     by_value
      - .offset:         104
        .size:           8
        .value_kind:     by_value
      - .offset:         112
        .size:           8
        .value_kind:     by_value
    .group_segment_fixed_size: 0
    .kernarg_segment_align: 8
    .kernarg_segment_size: 120
    .language:       OpenCL C
    .language_version:
      - 2
      - 0
    .max_flat_workgroup_size: 256
    .name:           _ZL26rocblas_sger_gfx942_kernelILi256E19rocblas_complex_numIdEPKS1_S3_PS1_EviiT1_lT2_lllS6_lllT3_lll
    .private_segment_fixed_size: 0
    .sgpr_count:     0
    .sgpr_spill_count: 0
    .symbol:         _ZL26rocblas_sger_gfx942_kernelILi256E19rocblas_complex_numIdEPKS1_S3_PS1_EviiT1_lT2_lllS6_lllT3_lll.kd
    .uniform_work_group_size: 1
    .uses_dynamic_stack: false
    .vgpr_count:     0
    .vgpr_spill_count: 0
    .wavefront_size: 32
    .workgroup_processor_mode: 1
  - .args:
      - .offset:         0
        .size:           4
        .value_kind:     by_value
      - .offset:         4
        .size:           4
        .value_kind:     by_value
      - .offset:         8
        .size:           16
        .value_kind:     by_value
      - .offset:         24
        .size:           8
        .value_kind:     by_value
      - .address_space:  global
        .offset:         32
        .size:           8
        .value_kind:     global_buffer
      - .offset:         40
        .size:           8
        .value_kind:     by_value
      - .offset:         48
        .size:           8
        .value_kind:     by_value
      - .offset:         56
        .size:           8
        .value_kind:     by_value
      - .address_space:  global
        .offset:         64
        .size:           8
        .value_kind:     global_buffer
      - .offset:         72
        .size:           8
        .value_kind:     by_value
      - .offset:         80
        .size:           8
        .value_kind:     by_value
      - .offset:         88
        .size:           8
        .value_kind:     by_value
      - .address_space:  global
        .offset:         96
        .size:           8
        .value_kind:     global_buffer
      - .offset:         104
        .size:           8
        .value_kind:     by_value
      - .offset:         112
        .size:           8
        .value_kind:     by_value
      - .offset:         120
        .size:           8
        .value_kind:     by_value
    .group_segment_fixed_size: 0
    .kernarg_segment_align: 8
    .kernarg_segment_size: 128
    .language:       OpenCL C
    .language_version:
      - 2
      - 0
    .max_flat_workgroup_size: 256
    .name:           _ZL26rocblas_sger_gfx942_kernelILi256E19rocblas_complex_numIdES1_PKS1_PS1_EviiT1_lT2_lllS6_lllT3_lll
    .private_segment_fixed_size: 0
    .sgpr_count:     0
    .sgpr_spill_count: 0
    .symbol:         _ZL26rocblas_sger_gfx942_kernelILi256E19rocblas_complex_numIdES1_PKS1_PS1_EviiT1_lT2_lllS6_lllT3_lll.kd
    .uniform_work_group_size: 1
    .uses_dynamic_stack: false
    .vgpr_count:     0
    .vgpr_spill_count: 0
    .wavefront_size: 32
    .workgroup_processor_mode: 1
  - .args:
      - .offset:         0
        .size:           4
        .value_kind:     by_value
      - .offset:         4
        .size:           4
        .value_kind:     by_value
      - .address_space:  global
        .offset:         8
        .size:           8
        .value_kind:     global_buffer
      - .offset:         16
        .size:           8
        .value_kind:     by_value
      - .actual_access:  read_only
        .address_space:  global
        .offset:         24
        .size:           8
        .value_kind:     global_buffer
      - .offset:         32
        .size:           8
        .value_kind:     by_value
      - .offset:         40
        .size:           8
        .value_kind:     by_value
      - .offset:         48
        .size:           8
        .value_kind:     by_value
      - .actual_access:  read_only
        .address_space:  global
        .offset:         56
        .size:           8
        .value_kind:     global_buffer
      - .offset:         64
        .size:           8
        .value_kind:     by_value
      - .offset:         72
        .size:           8
        .value_kind:     by_value
      - .offset:         80
        .size:           8
        .value_kind:     by_value
      - .address_space:  global
        .offset:         88
        .size:           8
        .value_kind:     global_buffer
      - .offset:         96
        .size:           8
        .value_kind:     by_value
      - .offset:         104
        .size:           8
        .value_kind:     by_value
      - .offset:         112
        .size:           8
        .value_kind:     by_value
      - .offset:         120
        .size:           4
        .value_kind:     by_value
    .group_segment_fixed_size: 0
    .kernarg_segment_align: 8
    .kernarg_segment_size: 124
    .language:       OpenCL C
    .language_version:
      - 2
      - 0
    .max_flat_workgroup_size: 1024
    .name:           _ZL19rocblas_sger_kernelILi1024E19rocblas_complex_numIdEPKS1_S3_PS1_EviiT1_lT2_lllS6_lllT3_lmli
    .private_segment_fixed_size: 0
    .sgpr_count:     40
    .sgpr_spill_count: 0
    .symbol:         _ZL19rocblas_sger_kernelILi1024E19rocblas_complex_numIdEPKS1_S3_PS1_EviiT1_lT2_lllS6_lllT3_lmli.kd
    .uniform_work_group_size: 1
    .uses_dynamic_stack: false
    .vgpr_count:     24
    .vgpr_spill_count: 0
    .wavefront_size: 32
    .workgroup_processor_mode: 1
  - .args:
      - .offset:         0
        .size:           4
        .value_kind:     by_value
      - .offset:         4
        .size:           4
        .value_kind:     by_value
      - .offset:         8
        .size:           16
        .value_kind:     by_value
      - .offset:         24
        .size:           8
        .value_kind:     by_value
      - .actual_access:  read_only
        .address_space:  global
        .offset:         32
        .size:           8
        .value_kind:     global_buffer
      - .offset:         40
        .size:           8
        .value_kind:     by_value
      - .offset:         48
        .size:           8
        .value_kind:     by_value
      - .offset:         56
        .size:           8
        .value_kind:     by_value
      - .actual_access:  read_only
        .address_space:  global
        .offset:         64
        .size:           8
        .value_kind:     global_buffer
      - .offset:         72
        .size:           8
        .value_kind:     by_value
      - .offset:         80
        .size:           8
        .value_kind:     by_value
      - .offset:         88
        .size:           8
        .value_kind:     by_value
      - .address_space:  global
        .offset:         96
        .size:           8
        .value_kind:     global_buffer
      - .offset:         104
        .size:           8
        .value_kind:     by_value
      - .offset:         112
        .size:           8
        .value_kind:     by_value
      - .offset:         120
        .size:           8
        .value_kind:     by_value
      - .offset:         128
        .size:           4
        .value_kind:     by_value
    .group_segment_fixed_size: 0
    .kernarg_segment_align: 8
    .kernarg_segment_size: 132
    .language:       OpenCL C
    .language_version:
      - 2
      - 0
    .max_flat_workgroup_size: 1024
    .name:           _ZL19rocblas_sger_kernelILi1024E19rocblas_complex_numIdES1_PKS1_PS1_EviiT1_lT2_lllS6_lllT3_lmli
    .private_segment_fixed_size: 0
    .sgpr_count:     40
    .sgpr_spill_count: 0
    .symbol:         _ZL19rocblas_sger_kernelILi1024E19rocblas_complex_numIdES1_PKS1_PS1_EviiT1_lT2_lllS6_lllT3_lmli.kd
    .uniform_work_group_size: 1
    .uses_dynamic_stack: false
    .vgpr_count:     24
    .vgpr_spill_count: 0
    .wavefront_size: 32
    .workgroup_processor_mode: 1
  - .args:
      - .offset:         0
        .size:           4
        .value_kind:     by_value
      - .offset:         4
        .size:           4
        .value_kind:     by_value
      - .address_space:  global
        .offset:         8
        .size:           8
        .value_kind:     global_buffer
      - .offset:         16
        .size:           8
        .value_kind:     by_value
      - .actual_access:  read_only
        .address_space:  global
        .offset:         24
        .size:           8
        .value_kind:     global_buffer
      - .offset:         32
        .size:           8
        .value_kind:     by_value
      - .offset:         40
        .size:           8
        .value_kind:     by_value
      - .offset:         48
        .size:           8
        .value_kind:     by_value
      - .actual_access:  read_only
        .address_space:  global
        .offset:         56
        .size:           8
        .value_kind:     global_buffer
      - .offset:         64
        .size:           8
        .value_kind:     by_value
      - .offset:         72
        .size:           8
        .value_kind:     by_value
      - .offset:         80
        .size:           8
        .value_kind:     by_value
      - .address_space:  global
        .offset:         88
        .size:           8
        .value_kind:     global_buffer
      - .offset:         96
        .size:           8
        .value_kind:     by_value
      - .offset:         104
        .size:           8
        .value_kind:     by_value
      - .offset:         112
        .size:           8
        .value_kind:     by_value
      - .offset:         120
        .size:           4
        .value_kind:     by_value
    .group_segment_fixed_size: 1536
    .kernarg_segment_align: 8
    .kernarg_segment_size: 124
    .language:       OpenCL C
    .language_version:
      - 2
      - 0
    .max_flat_workgroup_size: 1024
    .name:           _ZL18rocblas_ger_kernelILi32ELi32ELi2ELb0E19rocblas_complex_numIdEPKS1_S3_PS1_EviiT4_lT5_lllS6_lllT6_lmli
    .private_segment_fixed_size: 0
    .sgpr_count:     42
    .sgpr_spill_count: 0
    .symbol:         _ZL18rocblas_ger_kernelILi32ELi32ELi2ELb0E19rocblas_complex_numIdEPKS1_S3_PS1_EviiT4_lT5_lllS6_lllT6_lmli.kd
    .uniform_work_group_size: 1
    .uses_dynamic_stack: false
    .vgpr_count:     32
    .vgpr_spill_count: 0
    .wavefront_size: 32
    .workgroup_processor_mode: 1
  - .args:
      - .offset:         0
        .size:           4
        .value_kind:     by_value
      - .offset:         4
        .size:           4
        .value_kind:     by_value
      - .offset:         8
        .size:           16
        .value_kind:     by_value
      - .offset:         24
        .size:           8
        .value_kind:     by_value
      - .actual_access:  read_only
        .address_space:  global
        .offset:         32
        .size:           8
        .value_kind:     global_buffer
      - .offset:         40
        .size:           8
        .value_kind:     by_value
      - .offset:         48
        .size:           8
        .value_kind:     by_value
      - .offset:         56
        .size:           8
        .value_kind:     by_value
      - .actual_access:  read_only
        .address_space:  global
        .offset:         64
        .size:           8
        .value_kind:     global_buffer
      - .offset:         72
        .size:           8
        .value_kind:     by_value
      - .offset:         80
        .size:           8
        .value_kind:     by_value
      - .offset:         88
        .size:           8
        .value_kind:     by_value
      - .address_space:  global
        .offset:         96
        .size:           8
        .value_kind:     global_buffer
      - .offset:         104
        .size:           8
        .value_kind:     by_value
      - .offset:         112
        .size:           8
        .value_kind:     by_value
      - .offset:         120
        .size:           8
        .value_kind:     by_value
      - .offset:         128
        .size:           4
        .value_kind:     by_value
    .group_segment_fixed_size: 1536
    .kernarg_segment_align: 8
    .kernarg_segment_size: 132
    .language:       OpenCL C
    .language_version:
      - 2
      - 0
    .max_flat_workgroup_size: 1024
    .name:           _ZL18rocblas_ger_kernelILi32ELi32ELi2ELb0E19rocblas_complex_numIdES1_PKS1_PS1_EviiT4_lT5_lllS6_lllT6_lmli
    .private_segment_fixed_size: 0
    .sgpr_count:     43
    .sgpr_spill_count: 0
    .symbol:         _ZL18rocblas_ger_kernelILi32ELi32ELi2ELb0E19rocblas_complex_numIdES1_PKS1_PS1_EviiT4_lT5_lllS6_lllT6_lmli.kd
    .uniform_work_group_size: 1
    .uses_dynamic_stack: false
    .vgpr_count:     31
    .vgpr_spill_count: 0
    .wavefront_size: 32
    .workgroup_processor_mode: 1
  - .args:
      - .offset:         0
        .size:           1
        .value_kind:     by_value
      - .offset:         4
        .size:           4
        .value_kind:     by_value
      - .offset:         8
        .size:           4
        .value_kind:     by_value
      - .offset:         16
        .size:           8
        .value_kind:     by_value
      - .offset:         24
        .size:           8
        .value_kind:     by_value
      - .actual_access:  read_only
        .address_space:  global
        .offset:         32
        .size:           8
        .value_kind:     global_buffer
      - .offset:         40
        .size:           8
        .value_kind:     by_value
      - .offset:         48
        .size:           8
        .value_kind:     by_value
      - .offset:         56
        .size:           8
        .value_kind:     by_value
      - .actual_access:  read_only
        .address_space:  global
        .offset:         64
        .size:           8
        .value_kind:     global_buffer
      - .offset:         72
        .size:           8
        .value_kind:     by_value
      - .offset:         80
        .size:           8
        .value_kind:     by_value
      - .offset:         88
        .size:           8
        .value_kind:     by_value
      - .address_space:  global
        .offset:         96
        .size:           8
        .value_kind:     global_buffer
      - .offset:         104
        .size:           8
        .value_kind:     by_value
      - .offset:         112
        .size:           8
        .value_kind:     by_value
      - .offset:         120
        .size:           8
        .value_kind:     by_value
      - .offset:         128
        .size:           4
        .value_kind:     by_value
    .group_segment_fixed_size: 0
    .kernarg_segment_align: 8
    .kernarg_segment_size: 132
    .language:       OpenCL C
    .language_version:
      - 2
      - 0
    .max_flat_workgroup_size: 1024
    .name:           _ZL34rocblas_ger_double_buffered_kernelILb1ELi64ELi16ELi2E19rocblas_complex_numIfE24rocblas_internal_val_ptrIS1_EPKS1_PS1_EvbiiT4_lT5_lllS8_lllT6_lmli
    .private_segment_fixed_size: 0
    .sgpr_count:     38
    .sgpr_spill_count: 0
    .symbol:         _ZL34rocblas_ger_double_buffered_kernelILb1ELi64ELi16ELi2E19rocblas_complex_numIfE24rocblas_internal_val_ptrIS1_EPKS1_PS1_EvbiiT4_lT5_lllS8_lllT6_lmli.kd
    .uniform_work_group_size: 1
    .uses_dynamic_stack: false
    .vgpr_count:     36
    .vgpr_spill_count: 0
    .wavefront_size: 32
    .workgroup_processor_mode: 1
  - .args:
      - .offset:         0
        .size:           4
        .value_kind:     by_value
      - .offset:         4
        .size:           4
        .value_kind:     by_value
      - .address_space:  global
        .offset:         8
        .size:           8
        .value_kind:     global_buffer
      - .offset:         16
        .size:           8
        .value_kind:     by_value
      - .actual_access:  read_only
        .address_space:  global
        .offset:         24
        .size:           8
        .value_kind:     global_buffer
      - .offset:         32
        .size:           8
        .value_kind:     by_value
      - .offset:         40
        .size:           8
        .value_kind:     by_value
      - .offset:         48
        .size:           8
        .value_kind:     by_value
      - .actual_access:  read_only
        .address_space:  global
        .offset:         56
        .size:           8
        .value_kind:     global_buffer
      - .offset:         64
        .size:           8
        .value_kind:     by_value
      - .offset:         72
        .size:           8
        .value_kind:     by_value
      - .offset:         80
        .size:           8
        .value_kind:     by_value
      - .address_space:  global
        .offset:         88
        .size:           8
        .value_kind:     global_buffer
      - .offset:         96
        .size:           8
        .value_kind:     by_value
      - .offset:         104
        .size:           8
        .value_kind:     by_value
      - .offset:         112
        .size:           8
        .value_kind:     by_value
      - .offset:         120
        .size:           4
        .value_kind:     by_value
    .group_segment_fixed_size: 768
    .kernarg_segment_align: 8
    .kernarg_segment_size: 124
    .language:       OpenCL C
    .language_version:
      - 2
      - 0
    .max_flat_workgroup_size: 1024
    .name:           _ZL18rocblas_ger_kernelILi32ELi32ELi2ELb1E19rocblas_complex_numIfEPKS1_S3_PS1_EviiT4_lT5_lllS6_lllT6_lmli
    .private_segment_fixed_size: 0
    .sgpr_count:     42
    .sgpr_spill_count: 0
    .symbol:         _ZL18rocblas_ger_kernelILi32ELi32ELi2ELb1E19rocblas_complex_numIfEPKS1_S3_PS1_EviiT4_lT5_lllS6_lllT6_lmli.kd
    .uniform_work_group_size: 1
    .uses_dynamic_stack: false
    .vgpr_count:     25
    .vgpr_spill_count: 0
    .wavefront_size: 32
    .workgroup_processor_mode: 1
  - .args:
      - .offset:         0
        .size:           4
        .value_kind:     by_value
      - .offset:         4
        .size:           4
        .value_kind:     by_value
      - .offset:         8
        .size:           8
        .value_kind:     by_value
      - .offset:         16
        .size:           8
        .value_kind:     by_value
      - .actual_access:  read_only
        .address_space:  global
        .offset:         24
        .size:           8
        .value_kind:     global_buffer
      - .offset:         32
        .size:           8
        .value_kind:     by_value
      - .offset:         40
        .size:           8
        .value_kind:     by_value
      - .offset:         48
        .size:           8
        .value_kind:     by_value
      - .actual_access:  read_only
        .address_space:  global
        .offset:         56
        .size:           8
        .value_kind:     global_buffer
      - .offset:         64
        .size:           8
        .value_kind:     by_value
      - .offset:         72
        .size:           8
        .value_kind:     by_value
      - .offset:         80
        .size:           8
        .value_kind:     by_value
      - .address_space:  global
        .offset:         88
        .size:           8
        .value_kind:     global_buffer
      - .offset:         96
        .size:           8
        .value_kind:     by_value
      - .offset:         104
        .size:           8
        .value_kind:     by_value
      - .offset:         112
        .size:           8
        .value_kind:     by_value
      - .offset:         120
        .size:           4
        .value_kind:     by_value
    .group_segment_fixed_size: 768
    .kernarg_segment_align: 8
    .kernarg_segment_size: 124
    .language:       OpenCL C
    .language_version:
      - 2
      - 0
    .max_flat_workgroup_size: 1024
    .name:           _ZL18rocblas_ger_kernelILi32ELi32ELi2ELb1E19rocblas_complex_numIfES1_PKS1_PS1_EviiT4_lT5_lllS6_lllT6_lmli
    .private_segment_fixed_size: 0
    .sgpr_count:     40
    .sgpr_spill_count: 0
    .symbol:         _ZL18rocblas_ger_kernelILi32ELi32ELi2ELb1E19rocblas_complex_numIfES1_PKS1_PS1_EviiT4_lT5_lllS6_lllT6_lmli.kd
    .uniform_work_group_size: 1
    .uses_dynamic_stack: false
    .vgpr_count:     24
    .vgpr_spill_count: 0
    .wavefront_size: 32
    .workgroup_processor_mode: 1
  - .args:
      - .offset:         0
        .size:           1
        .value_kind:     by_value
      - .offset:         4
        .size:           4
        .value_kind:     by_value
      - .offset:         8
        .size:           4
        .value_kind:     by_value
      - .offset:         16
        .size:           16
        .value_kind:     by_value
      - .offset:         32
        .size:           8
        .value_kind:     by_value
      - .actual_access:  read_only
        .address_space:  global
        .offset:         40
        .size:           8
        .value_kind:     global_buffer
      - .offset:         48
        .size:           8
        .value_kind:     by_value
      - .offset:         56
        .size:           8
        .value_kind:     by_value
      - .offset:         64
        .size:           8
        .value_kind:     by_value
      - .actual_access:  read_only
        .address_space:  global
        .offset:         72
        .size:           8
        .value_kind:     global_buffer
      - .offset:         80
        .size:           8
        .value_kind:     by_value
      - .offset:         88
        .size:           8
        .value_kind:     by_value
      - .offset:         96
        .size:           8
        .value_kind:     by_value
      - .address_space:  global
        .offset:         104
        .size:           8
        .value_kind:     global_buffer
      - .offset:         112
        .size:           8
        .value_kind:     by_value
      - .offset:         120
        .size:           8
        .value_kind:     by_value
      - .offset:         128
        .size:           8
        .value_kind:     by_value
      - .offset:         136
        .size:           4
        .value_kind:     by_value
    .group_segment_fixed_size: 0
    .kernarg_segment_align: 8
    .kernarg_segment_size: 140
    .language:       OpenCL C
    .language_version:
      - 2
      - 0
    .max_flat_workgroup_size: 1024
    .name:           _ZL34rocblas_ger_double_buffered_kernelILb1ELi64ELi16ELi2E19rocblas_complex_numIdE24rocblas_internal_val_ptrIS1_EPKS1_PS1_EvbiiT4_lT5_lllS8_lllT6_lmli
    .private_segment_fixed_size: 0
    .sgpr_count:     41
    .sgpr_spill_count: 0
    .symbol:         _ZL34rocblas_ger_double_buffered_kernelILb1ELi64ELi16ELi2E19rocblas_complex_numIdE24rocblas_internal_val_ptrIS1_EPKS1_PS1_EvbiiT4_lT5_lllS8_lllT6_lmli.kd
    .uniform_work_group_size: 1
    .uses_dynamic_stack: false
    .vgpr_count:     58
    .vgpr_spill_count: 0
    .wavefront_size: 32
    .workgroup_processor_mode: 1
  - .args:
      - .offset:         0
        .size:           4
        .value_kind:     by_value
      - .offset:         4
        .size:           4
        .value_kind:     by_value
      - .address_space:  global
        .offset:         8
        .size:           8
        .value_kind:     global_buffer
      - .offset:         16
        .size:           8
        .value_kind:     by_value
      - .actual_access:  read_only
        .address_space:  global
        .offset:         24
        .size:           8
        .value_kind:     global_buffer
      - .offset:         32
        .size:           8
        .value_kind:     by_value
      - .offset:         40
        .size:           8
        .value_kind:     by_value
      - .offset:         48
        .size:           8
        .value_kind:     by_value
      - .actual_access:  read_only
        .address_space:  global
        .offset:         56
        .size:           8
        .value_kind:     global_buffer
      - .offset:         64
        .size:           8
        .value_kind:     by_value
      - .offset:         72
        .size:           8
        .value_kind:     by_value
      - .offset:         80
        .size:           8
        .value_kind:     by_value
      - .address_space:  global
        .offset:         88
        .size:           8
        .value_kind:     global_buffer
      - .offset:         96
        .size:           8
        .value_kind:     by_value
      - .offset:         104
        .size:           8
        .value_kind:     by_value
      - .offset:         112
        .size:           8
        .value_kind:     by_value
      - .offset:         120
        .size:           4
        .value_kind:     by_value
    .group_segment_fixed_size: 1536
    .kernarg_segment_align: 8
    .kernarg_segment_size: 124
    .language:       OpenCL C
    .language_version:
      - 2
      - 0
    .max_flat_workgroup_size: 1024
    .name:           _ZL18rocblas_ger_kernelILi32ELi32ELi2ELb1E19rocblas_complex_numIdEPKS1_S3_PS1_EviiT4_lT5_lllS6_lllT6_lmli
    .private_segment_fixed_size: 0
    .sgpr_count:     42
    .sgpr_spill_count: 0
    .symbol:         _ZL18rocblas_ger_kernelILi32ELi32ELi2ELb1E19rocblas_complex_numIdEPKS1_S3_PS1_EviiT4_lT5_lllS6_lllT6_lmli.kd
    .uniform_work_group_size: 1
    .uses_dynamic_stack: false
    .vgpr_count:     32
    .vgpr_spill_count: 0
    .wavefront_size: 32
    .workgroup_processor_mode: 1
  - .args:
      - .offset:         0
        .size:           4
        .value_kind:     by_value
      - .offset:         4
        .size:           4
        .value_kind:     by_value
      - .offset:         8
        .size:           16
        .value_kind:     by_value
      - .offset:         24
        .size:           8
        .value_kind:     by_value
      - .actual_access:  read_only
        .address_space:  global
        .offset:         32
        .size:           8
        .value_kind:     global_buffer
      - .offset:         40
        .size:           8
        .value_kind:     by_value
      - .offset:         48
        .size:           8
        .value_kind:     by_value
      - .offset:         56
        .size:           8
        .value_kind:     by_value
      - .actual_access:  read_only
        .address_space:  global
        .offset:         64
        .size:           8
        .value_kind:     global_buffer
      - .offset:         72
        .size:           8
        .value_kind:     by_value
      - .offset:         80
        .size:           8
        .value_kind:     by_value
      - .offset:         88
        .size:           8
        .value_kind:     by_value
      - .address_space:  global
        .offset:         96
        .size:           8
        .value_kind:     global_buffer
      - .offset:         104
        .size:           8
        .value_kind:     by_value
      - .offset:         112
        .size:           8
        .value_kind:     by_value
      - .offset:         120
        .size:           8
        .value_kind:     by_value
      - .offset:         128
        .size:           4
        .value_kind:     by_value
    .group_segment_fixed_size: 1536
    .kernarg_segment_align: 8
    .kernarg_segment_size: 132
    .language:       OpenCL C
    .language_version:
      - 2
      - 0
    .max_flat_workgroup_size: 1024
    .name:           _ZL18rocblas_ger_kernelILi32ELi32ELi2ELb1E19rocblas_complex_numIdES1_PKS1_PS1_EviiT4_lT5_lllS6_lllT6_lmli
    .private_segment_fixed_size: 0
    .sgpr_count:     43
    .sgpr_spill_count: 0
    .symbol:         _ZL18rocblas_ger_kernelILi32ELi32ELi2ELb1E19rocblas_complex_numIdES1_PKS1_PS1_EviiT4_lT5_lllS6_lllT6_lmli.kd
    .uniform_work_group_size: 1
    .uses_dynamic_stack: false
    .vgpr_count:     31
    .vgpr_spill_count: 0
    .wavefront_size: 32
    .workgroup_processor_mode: 1
  - .args:
      - .offset:         0
        .size:           1
        .value_kind:     by_value
      - .offset:         4
        .size:           4
        .value_kind:     by_value
      - .offset:         8
        .size:           4
        .value_kind:     by_value
      - .offset:         16
        .size:           8
        .value_kind:     by_value
      - .offset:         24
        .size:           8
        .value_kind:     by_value
      - .actual_access:  read_only
        .address_space:  global
        .offset:         32
        .size:           8
        .value_kind:     global_buffer
      - .offset:         40
        .size:           8
        .value_kind:     by_value
      - .offset:         48
        .size:           8
        .value_kind:     by_value
      - .offset:         56
        .size:           8
        .value_kind:     by_value
      - .actual_access:  read_only
        .address_space:  global
        .offset:         64
        .size:           8
        .value_kind:     global_buffer
      - .offset:         72
        .size:           8
        .value_kind:     by_value
      - .offset:         80
        .size:           8
        .value_kind:     by_value
      - .offset:         88
        .size:           8
        .value_kind:     by_value
      - .actual_access:  read_only
        .address_space:  global
        .offset:         96
        .size:           8
        .value_kind:     global_buffer
      - .offset:         104
        .size:           8
        .value_kind:     by_value
      - .offset:         112
        .size:           8
        .value_kind:     by_value
      - .offset:         120
        .size:           8
        .value_kind:     by_value
      - .offset:         128
        .size:           4
        .value_kind:     by_value
    .group_segment_fixed_size: 0
    .kernarg_segment_align: 8
    .kernarg_segment_size: 132
    .language:       OpenCL C
    .language_version:
      - 2
      - 0
    .max_flat_workgroup_size: 1024
    .name:           _ZL34rocblas_ger_double_buffered_kernelILb0ELi128ELi8ELi8Ef24rocblas_internal_val_ptrIfEPKPKfPKPfEvbiiT4_lT5_lllSA_lllT6_lmli
    .private_segment_fixed_size: 0
    .sgpr_count:     52
    .sgpr_spill_count: 0
    .symbol:         _ZL34rocblas_ger_double_buffered_kernelILb0ELi128ELi8ELi8Ef24rocblas_internal_val_ptrIfEPKPKfPKPfEvbiiT4_lT5_lllSA_lllT6_lmli.kd
    .uniform_work_group_size: 1
    .uses_dynamic_stack: false
    .vgpr_count:     67
    .vgpr_spill_count: 0
    .wavefront_size: 32
    .workgroup_processor_mode: 1
  - .args:
      - .offset:         0
        .size:           4
        .value_kind:     by_value
      - .offset:         4
        .size:           4
        .value_kind:     by_value
      - .address_space:  global
        .offset:         8
        .size:           8
        .value_kind:     global_buffer
      - .offset:         16
        .size:           8
        .value_kind:     by_value
      - .address_space:  global
        .offset:         24
        .size:           8
        .value_kind:     global_buffer
      - .offset:         32
        .size:           8
        .value_kind:     by_value
      - .offset:         40
        .size:           8
        .value_kind:     by_value
      - .offset:         48
        .size:           8
        .value_kind:     by_value
      - .address_space:  global
        .offset:         56
        .size:           8
        .value_kind:     global_buffer
      - .offset:         64
        .size:           8
        .value_kind:     by_value
      - .offset:         72
        .size:           8
        .value_kind:     by_value
      - .offset:         80
        .size:           8
        .value_kind:     by_value
      - .address_space:  global
        .offset:         88
        .size:           8
        .value_kind:     global_buffer
      - .offset:         96
        .size:           8
        .value_kind:     by_value
      - .offset:         104
        .size:           8
        .value_kind:     by_value
      - .offset:         112
        .size:           8
        .value_kind:     by_value
    .group_segment_fixed_size: 0
    .kernarg_segment_align: 8
    .kernarg_segment_size: 120
    .language:       OpenCL C
    .language_version:
      - 2
      - 0
    .max_flat_workgroup_size: 256
    .name:           _ZL26rocblas_sger_gfx942_kernelILi256EfPKfPKS1_PKPfEviiT1_lT2_lllS8_lllT3_lll
    .private_segment_fixed_size: 0
    .sgpr_count:     0
    .sgpr_spill_count: 0
    .symbol:         _ZL26rocblas_sger_gfx942_kernelILi256EfPKfPKS1_PKPfEviiT1_lT2_lllS8_lllT3_lll.kd
    .uniform_work_group_size: 1
    .uses_dynamic_stack: false
    .vgpr_count:     0
    .vgpr_spill_count: 0
    .wavefront_size: 32
    .workgroup_processor_mode: 1
  - .args:
      - .offset:         0
        .size:           4
        .value_kind:     by_value
      - .offset:         4
        .size:           4
        .value_kind:     by_value
      - .offset:         8
        .size:           4
        .value_kind:     by_value
      - .offset:         16
        .size:           8
        .value_kind:     by_value
      - .address_space:  global
        .offset:         24
        .size:           8
        .value_kind:     global_buffer
      - .offset:         32
        .size:           8
        .value_kind:     by_value
      - .offset:         40
        .size:           8
        .value_kind:     by_value
      - .offset:         48
        .size:           8
        .value_kind:     by_value
      - .address_space:  global
        .offset:         56
        .size:           8
        .value_kind:     global_buffer
      - .offset:         64
        .size:           8
        .value_kind:     by_value
      - .offset:         72
        .size:           8
        .value_kind:     by_value
      - .offset:         80
        .size:           8
        .value_kind:     by_value
      - .address_space:  global
        .offset:         88
        .size:           8
        .value_kind:     global_buffer
      - .offset:         96
        .size:           8
        .value_kind:     by_value
      - .offset:         104
        .size:           8
        .value_kind:     by_value
      - .offset:         112
        .size:           8
        .value_kind:     by_value
    .group_segment_fixed_size: 0
    .kernarg_segment_align: 8
    .kernarg_segment_size: 120
    .language:       OpenCL C
    .language_version:
      - 2
      - 0
    .max_flat_workgroup_size: 256
    .name:           _ZL26rocblas_sger_gfx942_kernelILi256EffPKPKfPKPfEviiT1_lT2_lllS8_lllT3_lll
    .private_segment_fixed_size: 0
    .sgpr_count:     0
    .sgpr_spill_count: 0
    .symbol:         _ZL26rocblas_sger_gfx942_kernelILi256EffPKPKfPKPfEviiT1_lT2_lllS8_lllT3_lll.kd
    .uniform_work_group_size: 1
    .uses_dynamic_stack: false
    .vgpr_count:     0
    .vgpr_spill_count: 0
    .wavefront_size: 32
    .workgroup_processor_mode: 1
  - .args:
      - .offset:         0
        .size:           4
        .value_kind:     by_value
      - .offset:         4
        .size:           4
        .value_kind:     by_value
      - .address_space:  global
        .offset:         8
        .size:           8
        .value_kind:     global_buffer
      - .offset:         16
        .size:           8
        .value_kind:     by_value
      - .actual_access:  read_only
        .address_space:  global
        .offset:         24
        .size:           8
        .value_kind:     global_buffer
      - .offset:         32
        .size:           8
        .value_kind:     by_value
      - .offset:         40
        .size:           8
        .value_kind:     by_value
      - .offset:         48
        .size:           8
        .value_kind:     by_value
      - .actual_access:  read_only
        .address_space:  global
        .offset:         56
        .size:           8
        .value_kind:     global_buffer
      - .offset:         64
        .size:           8
        .value_kind:     by_value
      - .offset:         72
        .size:           8
        .value_kind:     by_value
      - .offset:         80
        .size:           8
        .value_kind:     by_value
      - .actual_access:  read_only
        .address_space:  global
        .offset:         88
        .size:           8
        .value_kind:     global_buffer
      - .offset:         96
        .size:           8
        .value_kind:     by_value
      - .offset:         104
        .size:           8
        .value_kind:     by_value
      - .offset:         112
        .size:           8
        .value_kind:     by_value
      - .offset:         120
        .size:           4
        .value_kind:     by_value
    .group_segment_fixed_size: 0
    .kernarg_segment_align: 8
    .kernarg_segment_size: 124
    .language:       OpenCL C
    .language_version:
      - 2
      - 0
    .max_flat_workgroup_size: 1024
    .name:           _ZL19rocblas_sger_kernelILi1024EfPKfPKS1_PKPfEviiT1_lT2_lllS8_lllT3_lmli
    .private_segment_fixed_size: 0
    .sgpr_count:     34
    .sgpr_spill_count: 0
    .symbol:         _ZL19rocblas_sger_kernelILi1024EfPKfPKS1_PKPfEviiT1_lT2_lllS8_lllT3_lmli.kd
    .uniform_work_group_size: 1
    .uses_dynamic_stack: false
    .vgpr_count:     13
    .vgpr_spill_count: 0
    .wavefront_size: 32
    .workgroup_processor_mode: 1
  - .args:
      - .offset:         0
        .size:           4
        .value_kind:     by_value
      - .offset:         4
        .size:           4
        .value_kind:     by_value
      - .offset:         8
        .size:           4
        .value_kind:     by_value
      - .offset:         16
        .size:           8
        .value_kind:     by_value
      - .actual_access:  read_only
        .address_space:  global
        .offset:         24
        .size:           8
        .value_kind:     global_buffer
      - .offset:         32
        .size:           8
        .value_kind:     by_value
      - .offset:         40
        .size:           8
        .value_kind:     by_value
      - .offset:         48
        .size:           8
        .value_kind:     by_value
      - .actual_access:  read_only
        .address_space:  global
        .offset:         56
        .size:           8
        .value_kind:     global_buffer
      - .offset:         64
        .size:           8
        .value_kind:     by_value
      - .offset:         72
        .size:           8
        .value_kind:     by_value
      - .offset:         80
        .size:           8
        .value_kind:     by_value
      - .actual_access:  read_only
        .address_space:  global
        .offset:         88
        .size:           8
        .value_kind:     global_buffer
      - .offset:         96
        .size:           8
        .value_kind:     by_value
      - .offset:         104
        .size:           8
        .value_kind:     by_value
      - .offset:         112
        .size:           8
        .value_kind:     by_value
      - .offset:         120
        .size:           4
        .value_kind:     by_value
    .group_segment_fixed_size: 0
    .kernarg_segment_align: 8
    .kernarg_segment_size: 124
    .language:       OpenCL C
    .language_version:
      - 2
      - 0
    .max_flat_workgroup_size: 1024
    .name:           _ZL19rocblas_sger_kernelILi1024EffPKPKfPKPfEviiT1_lT2_lllS8_lllT3_lmli
    .private_segment_fixed_size: 0
    .sgpr_count:     34
    .sgpr_spill_count: 0
    .symbol:         _ZL19rocblas_sger_kernelILi1024EffPKPKfPKPfEviiT1_lT2_lllS8_lllT3_lmli.kd
    .uniform_work_group_size: 1
    .uses_dynamic_stack: false
    .vgpr_count:     12
    .vgpr_spill_count: 0
    .wavefront_size: 32
    .workgroup_processor_mode: 1
  - .args:
      - .offset:         0
        .size:           4
        .value_kind:     by_value
      - .offset:         4
        .size:           4
        .value_kind:     by_value
      - .address_space:  global
        .offset:         8
        .size:           8
        .value_kind:     global_buffer
      - .offset:         16
        .size:           8
        .value_kind:     by_value
      - .actual_access:  read_only
        .address_space:  global
        .offset:         24
        .size:           8
        .value_kind:     global_buffer
      - .offset:         32
        .size:           8
        .value_kind:     by_value
      - .offset:         40
        .size:           8
        .value_kind:     by_value
      - .offset:         48
        .size:           8
        .value_kind:     by_value
      - .actual_access:  read_only
        .address_space:  global
        .offset:         56
        .size:           8
        .value_kind:     global_buffer
      - .offset:         64
        .size:           8
        .value_kind:     by_value
      - .offset:         72
        .size:           8
        .value_kind:     by_value
      - .offset:         80
        .size:           8
        .value_kind:     by_value
      - .actual_access:  read_only
        .address_space:  global
        .offset:         88
        .size:           8
        .value_kind:     global_buffer
      - .offset:         96
        .size:           8
        .value_kind:     by_value
      - .offset:         104
        .size:           8
        .value_kind:     by_value
      - .offset:         112
        .size:           8
        .value_kind:     by_value
      - .offset:         120
        .size:           4
        .value_kind:     by_value
    .group_segment_fixed_size: 384
    .kernarg_segment_align: 8
    .kernarg_segment_size: 124
    .language:       OpenCL C
    .language_version:
      - 2
      - 0
    .max_flat_workgroup_size: 1024
    .name:           _ZL18rocblas_ger_kernelILi32ELi32ELi2ELb0EfPKfPKS1_PKPfEviiT4_lT5_lllS8_lllT6_lmli
    .private_segment_fixed_size: 0
    .sgpr_count:     38
    .sgpr_spill_count: 0
    .symbol:         _ZL18rocblas_ger_kernelILi32ELi32ELi2ELb0EfPKfPKS1_PKPfEviiT4_lT5_lllS8_lllT6_lmli.kd
    .uniform_work_group_size: 1
    .uses_dynamic_stack: false
    .vgpr_count:     21
    .vgpr_spill_count: 0
    .wavefront_size: 32
    .workgroup_processor_mode: 1
  - .args:
      - .offset:         0
        .size:           4
        .value_kind:     by_value
      - .offset:         4
        .size:           4
        .value_kind:     by_value
      - .offset:         8
        .size:           4
        .value_kind:     by_value
      - .offset:         16
        .size:           8
        .value_kind:     by_value
      - .actual_access:  read_only
        .address_space:  global
        .offset:         24
        .size:           8
        .value_kind:     global_buffer
      - .offset:         32
        .size:           8
        .value_kind:     by_value
      - .offset:         40
        .size:           8
        .value_kind:     by_value
      - .offset:         48
        .size:           8
        .value_kind:     by_value
      - .actual_access:  read_only
        .address_space:  global
        .offset:         56
        .size:           8
        .value_kind:     global_buffer
      - .offset:         64
        .size:           8
        .value_kind:     by_value
      - .offset:         72
        .size:           8
        .value_kind:     by_value
      - .offset:         80
        .size:           8
        .value_kind:     by_value
      - .actual_access:  read_only
        .address_space:  global
        .offset:         88
        .size:           8
        .value_kind:     global_buffer
      - .offset:         96
        .size:           8
        .value_kind:     by_value
      - .offset:         104
        .size:           8
        .value_kind:     by_value
      - .offset:         112
        .size:           8
        .value_kind:     by_value
      - .offset:         120
        .size:           4
        .value_kind:     by_value
    .group_segment_fixed_size: 384
    .kernarg_segment_align: 8
    .kernarg_segment_size: 124
    .language:       OpenCL C
    .language_version:
      - 2
      - 0
    .max_flat_workgroup_size: 1024
    .name:           _ZL18rocblas_ger_kernelILi32ELi32ELi2ELb0EffPKPKfPKPfEviiT4_lT5_lllS8_lllT6_lmli
    .private_segment_fixed_size: 0
    .sgpr_count:     34
    .sgpr_spill_count: 0
    .symbol:         _ZL18rocblas_ger_kernelILi32ELi32ELi2ELb0EffPKPKfPKPfEviiT4_lT5_lllS8_lllT6_lmli.kd
    .uniform_work_group_size: 1
    .uses_dynamic_stack: false
    .vgpr_count:     22
    .vgpr_spill_count: 0
    .wavefront_size: 32
    .workgroup_processor_mode: 1
  - .args:
      - .offset:         0
        .size:           1
        .value_kind:     by_value
      - .offset:         4
        .size:           4
        .value_kind:     by_value
      - .offset:         8
        .size:           4
        .value_kind:     by_value
      - .offset:         16
        .size:           8
        .value_kind:     by_value
      - .offset:         24
        .size:           8
        .value_kind:     by_value
      - .actual_access:  read_only
        .address_space:  global
        .offset:         32
        .size:           8
        .value_kind:     global_buffer
      - .offset:         40
        .size:           8
        .value_kind:     by_value
      - .offset:         48
        .size:           8
        .value_kind:     by_value
      - .offset:         56
        .size:           8
        .value_kind:     by_value
      - .actual_access:  read_only
        .address_space:  global
        .offset:         64
        .size:           8
        .value_kind:     global_buffer
      - .offset:         72
        .size:           8
        .value_kind:     by_value
      - .offset:         80
        .size:           8
        .value_kind:     by_value
      - .offset:         88
        .size:           8
        .value_kind:     by_value
      - .actual_access:  read_only
        .address_space:  global
        .offset:         96
        .size:           8
        .value_kind:     global_buffer
      - .offset:         104
        .size:           8
        .value_kind:     by_value
      - .offset:         112
        .size:           8
        .value_kind:     by_value
      - .offset:         120
        .size:           8
        .value_kind:     by_value
      - .offset:         128
        .size:           4
        .value_kind:     by_value
    .group_segment_fixed_size: 0
    .kernarg_segment_align: 8
    .kernarg_segment_size: 132
    .language:       OpenCL C
    .language_version:
      - 2
      - 0
    .max_flat_workgroup_size: 1024
    .name:           _ZL34rocblas_ger_double_buffered_kernelILb0ELi64ELi16ELi2Ed24rocblas_internal_val_ptrIdEPKPKdPKPdEvbiiT4_lT5_lllSA_lllT6_lmli
    .private_segment_fixed_size: 0
    .sgpr_count:     42
    .sgpr_spill_count: 0
    .symbol:         _ZL34rocblas_ger_double_buffered_kernelILb0ELi64ELi16ELi2Ed24rocblas_internal_val_ptrIdEPKPKdPKPdEvbiiT4_lT5_lllSA_lllT6_lmli.kd
    .uniform_work_group_size: 1
    .uses_dynamic_stack: false
    .vgpr_count:     33
    .vgpr_spill_count: 0
    .wavefront_size: 32
    .workgroup_processor_mode: 1
  - .args:
      - .offset:         0
        .size:           4
        .value_kind:     by_value
      - .offset:         4
        .size:           4
        .value_kind:     by_value
      - .address_space:  global
        .offset:         8
        .size:           8
        .value_kind:     global_buffer
      - .offset:         16
        .size:           8
        .value_kind:     by_value
      - .address_space:  global
        .offset:         24
        .size:           8
        .value_kind:     global_buffer
      - .offset:         32
        .size:           8
        .value_kind:     by_value
      - .offset:         40
        .size:           8
        .value_kind:     by_value
      - .offset:         48
        .size:           8
        .value_kind:     by_value
      - .address_space:  global
        .offset:         56
        .size:           8
        .value_kind:     global_buffer
      - .offset:         64
        .size:           8
        .value_kind:     by_value
      - .offset:         72
        .size:           8
        .value_kind:     by_value
      - .offset:         80
        .size:           8
        .value_kind:     by_value
      - .address_space:  global
        .offset:         88
        .size:           8
        .value_kind:     global_buffer
      - .offset:         96
        .size:           8
        .value_kind:     by_value
      - .offset:         104
        .size:           8
        .value_kind:     by_value
      - .offset:         112
        .size:           8
        .value_kind:     by_value
    .group_segment_fixed_size: 0
    .kernarg_segment_align: 8
    .kernarg_segment_size: 120
    .language:       OpenCL C
    .language_version:
      - 2
      - 0
    .max_flat_workgroup_size: 256
    .name:           _ZL26rocblas_sger_gfx942_kernelILi256EdPKdPKS1_PKPdEviiT1_lT2_lllS8_lllT3_lll
    .private_segment_fixed_size: 0
    .sgpr_count:     0
    .sgpr_spill_count: 0
    .symbol:         _ZL26rocblas_sger_gfx942_kernelILi256EdPKdPKS1_PKPdEviiT1_lT2_lllS8_lllT3_lll.kd
    .uniform_work_group_size: 1
    .uses_dynamic_stack: false
    .vgpr_count:     0
    .vgpr_spill_count: 0
    .wavefront_size: 32
    .workgroup_processor_mode: 1
  - .args:
      - .offset:         0
        .size:           4
        .value_kind:     by_value
      - .offset:         4
        .size:           4
        .value_kind:     by_value
      - .offset:         8
        .size:           8
        .value_kind:     by_value
      - .offset:         16
        .size:           8
        .value_kind:     by_value
      - .address_space:  global
        .offset:         24
        .size:           8
        .value_kind:     global_buffer
      - .offset:         32
        .size:           8
        .value_kind:     by_value
      - .offset:         40
        .size:           8
        .value_kind:     by_value
      - .offset:         48
        .size:           8
        .value_kind:     by_value
      - .address_space:  global
        .offset:         56
        .size:           8
        .value_kind:     global_buffer
      - .offset:         64
        .size:           8
        .value_kind:     by_value
      - .offset:         72
        .size:           8
        .value_kind:     by_value
      - .offset:         80
        .size:           8
        .value_kind:     by_value
      - .address_space:  global
        .offset:         88
        .size:           8
        .value_kind:     global_buffer
      - .offset:         96
        .size:           8
        .value_kind:     by_value
      - .offset:         104
        .size:           8
        .value_kind:     by_value
      - .offset:         112
        .size:           8
        .value_kind:     by_value
    .group_segment_fixed_size: 0
    .kernarg_segment_align: 8
    .kernarg_segment_size: 120
    .language:       OpenCL C
    .language_version:
      - 2
      - 0
    .max_flat_workgroup_size: 256
    .name:           _ZL26rocblas_sger_gfx942_kernelILi256EddPKPKdPKPdEviiT1_lT2_lllS8_lllT3_lll
    .private_segment_fixed_size: 0
    .sgpr_count:     0
    .sgpr_spill_count: 0
    .symbol:         _ZL26rocblas_sger_gfx942_kernelILi256EddPKPKdPKPdEviiT1_lT2_lllS8_lllT3_lll.kd
    .uniform_work_group_size: 1
    .uses_dynamic_stack: false
    .vgpr_count:     0
    .vgpr_spill_count: 0
    .wavefront_size: 32
    .workgroup_processor_mode: 1
  - .args:
      - .offset:         0
        .size:           4
        .value_kind:     by_value
      - .offset:         4
        .size:           4
        .value_kind:     by_value
      - .address_space:  global
        .offset:         8
        .size:           8
        .value_kind:     global_buffer
      - .offset:         16
        .size:           8
        .value_kind:     by_value
      - .actual_access:  read_only
        .address_space:  global
        .offset:         24
        .size:           8
        .value_kind:     global_buffer
      - .offset:         32
        .size:           8
        .value_kind:     by_value
      - .offset:         40
        .size:           8
        .value_kind:     by_value
      - .offset:         48
        .size:           8
        .value_kind:     by_value
      - .actual_access:  read_only
        .address_space:  global
        .offset:         56
        .size:           8
        .value_kind:     global_buffer
      - .offset:         64
        .size:           8
        .value_kind:     by_value
      - .offset:         72
        .size:           8
        .value_kind:     by_value
      - .offset:         80
        .size:           8
        .value_kind:     by_value
      - .actual_access:  read_only
        .address_space:  global
        .offset:         88
        .size:           8
        .value_kind:     global_buffer
      - .offset:         96
        .size:           8
        .value_kind:     by_value
      - .offset:         104
        .size:           8
        .value_kind:     by_value
      - .offset:         112
        .size:           8
        .value_kind:     by_value
      - .offset:         120
        .size:           4
        .value_kind:     by_value
    .group_segment_fixed_size: 0
    .kernarg_segment_align: 8
    .kernarg_segment_size: 124
    .language:       OpenCL C
    .language_version:
      - 2
      - 0
    .max_flat_workgroup_size: 1024
    .name:           _ZL19rocblas_sger_kernelILi1024EdPKdPKS1_PKPdEviiT1_lT2_lllS8_lllT3_lmli
    .private_segment_fixed_size: 0
    .sgpr_count:     34
    .sgpr_spill_count: 0
    .symbol:         _ZL19rocblas_sger_kernelILi1024EdPKdPKS1_PKPdEviiT1_lT2_lllS8_lllT3_lmli.kd
    .uniform_work_group_size: 1
    .uses_dynamic_stack: false
    .vgpr_count:     16
    .vgpr_spill_count: 0
    .wavefront_size: 32
    .workgroup_processor_mode: 1
  - .args:
      - .offset:         0
        .size:           4
        .value_kind:     by_value
      - .offset:         4
        .size:           4
        .value_kind:     by_value
      - .offset:         8
        .size:           8
        .value_kind:     by_value
      - .offset:         16
        .size:           8
        .value_kind:     by_value
      - .actual_access:  read_only
        .address_space:  global
        .offset:         24
        .size:           8
        .value_kind:     global_buffer
      - .offset:         32
        .size:           8
        .value_kind:     by_value
      - .offset:         40
        .size:           8
        .value_kind:     by_value
      - .offset:         48
        .size:           8
        .value_kind:     by_value
      - .actual_access:  read_only
        .address_space:  global
        .offset:         56
        .size:           8
        .value_kind:     global_buffer
      - .offset:         64
        .size:           8
        .value_kind:     by_value
      - .offset:         72
        .size:           8
        .value_kind:     by_value
      - .offset:         80
        .size:           8
        .value_kind:     by_value
      - .actual_access:  read_only
        .address_space:  global
        .offset:         88
        .size:           8
        .value_kind:     global_buffer
      - .offset:         96
        .size:           8
        .value_kind:     by_value
      - .offset:         104
        .size:           8
        .value_kind:     by_value
      - .offset:         112
        .size:           8
        .value_kind:     by_value
      - .offset:         120
        .size:           4
        .value_kind:     by_value
    .group_segment_fixed_size: 0
    .kernarg_segment_align: 8
    .kernarg_segment_size: 124
    .language:       OpenCL C
    .language_version:
      - 2
      - 0
    .max_flat_workgroup_size: 1024
    .name:           _ZL19rocblas_sger_kernelILi1024EddPKPKdPKPdEviiT1_lT2_lllS8_lllT3_lmli
    .private_segment_fixed_size: 0
    .sgpr_count:     34
    .sgpr_spill_count: 0
    .symbol:         _ZL19rocblas_sger_kernelILi1024EddPKPKdPKPdEviiT1_lT2_lllS8_lllT3_lmli.kd
    .uniform_work_group_size: 1
    .uses_dynamic_stack: false
    .vgpr_count:     15
    .vgpr_spill_count: 0
    .wavefront_size: 32
    .workgroup_processor_mode: 1
  - .args:
      - .offset:         0
        .size:           4
        .value_kind:     by_value
      - .offset:         4
        .size:           4
        .value_kind:     by_value
      - .address_space:  global
        .offset:         8
        .size:           8
        .value_kind:     global_buffer
      - .offset:         16
        .size:           8
        .value_kind:     by_value
      - .actual_access:  read_only
        .address_space:  global
        .offset:         24
        .size:           8
        .value_kind:     global_buffer
      - .offset:         32
        .size:           8
        .value_kind:     by_value
      - .offset:         40
        .size:           8
        .value_kind:     by_value
      - .offset:         48
        .size:           8
        .value_kind:     by_value
      - .actual_access:  read_only
        .address_space:  global
        .offset:         56
        .size:           8
        .value_kind:     global_buffer
      - .offset:         64
        .size:           8
        .value_kind:     by_value
      - .offset:         72
        .size:           8
        .value_kind:     by_value
      - .offset:         80
        .size:           8
        .value_kind:     by_value
      - .actual_access:  read_only
        .address_space:  global
        .offset:         88
        .size:           8
        .value_kind:     global_buffer
      - .offset:         96
        .size:           8
        .value_kind:     by_value
      - .offset:         104
        .size:           8
        .value_kind:     by_value
      - .offset:         112
        .size:           8
        .value_kind:     by_value
      - .offset:         120
        .size:           4
        .value_kind:     by_value
    .group_segment_fixed_size: 768
    .kernarg_segment_align: 8
    .kernarg_segment_size: 124
    .language:       OpenCL C
    .language_version:
      - 2
      - 0
    .max_flat_workgroup_size: 1024
    .name:           _ZL18rocblas_ger_kernelILi32ELi32ELi2ELb0EdPKdPKS1_PKPdEviiT4_lT5_lllS8_lllT6_lmli
    .private_segment_fixed_size: 0
    .sgpr_count:     38
    .sgpr_spill_count: 0
    .symbol:         _ZL18rocblas_ger_kernelILi32ELi32ELi2ELb0EdPKdPKS1_PKPdEviiT4_lT5_lllS8_lllT6_lmli.kd
    .uniform_work_group_size: 1
    .uses_dynamic_stack: false
    .vgpr_count:     24
    .vgpr_spill_count: 0
    .wavefront_size: 32
    .workgroup_processor_mode: 1
  - .args:
      - .offset:         0
        .size:           4
        .value_kind:     by_value
      - .offset:         4
        .size:           4
        .value_kind:     by_value
      - .offset:         8
        .size:           8
        .value_kind:     by_value
      - .offset:         16
        .size:           8
        .value_kind:     by_value
      - .actual_access:  read_only
        .address_space:  global
        .offset:         24
        .size:           8
        .value_kind:     global_buffer
      - .offset:         32
        .size:           8
        .value_kind:     by_value
      - .offset:         40
        .size:           8
        .value_kind:     by_value
      - .offset:         48
        .size:           8
        .value_kind:     by_value
      - .actual_access:  read_only
        .address_space:  global
        .offset:         56
        .size:           8
        .value_kind:     global_buffer
      - .offset:         64
        .size:           8
        .value_kind:     by_value
      - .offset:         72
        .size:           8
        .value_kind:     by_value
      - .offset:         80
        .size:           8
        .value_kind:     by_value
      - .actual_access:  read_only
        .address_space:  global
        .offset:         88
        .size:           8
        .value_kind:     global_buffer
      - .offset:         96
        .size:           8
        .value_kind:     by_value
      - .offset:         104
        .size:           8
        .value_kind:     by_value
      - .offset:         112
        .size:           8
        .value_kind:     by_value
      - .offset:         120
        .size:           4
        .value_kind:     by_value
    .group_segment_fixed_size: 768
    .kernarg_segment_align: 8
    .kernarg_segment_size: 124
    .language:       OpenCL C
    .language_version:
      - 2
      - 0
    .max_flat_workgroup_size: 1024
    .name:           _ZL18rocblas_ger_kernelILi32ELi32ELi2ELb0EddPKPKdPKPdEviiT4_lT5_lllS8_lllT6_lmli
    .private_segment_fixed_size: 0
    .sgpr_count:     34
    .sgpr_spill_count: 0
    .symbol:         _ZL18rocblas_ger_kernelILi32ELi32ELi2ELb0EddPKPKdPKPdEviiT4_lT5_lllS8_lllT6_lmli.kd
    .uniform_work_group_size: 1
    .uses_dynamic_stack: false
    .vgpr_count:     23
    .vgpr_spill_count: 0
    .wavefront_size: 32
    .workgroup_processor_mode: 1
  - .args:
      - .offset:         0
        .size:           1
        .value_kind:     by_value
      - .offset:         4
        .size:           4
        .value_kind:     by_value
      - .offset:         8
        .size:           4
        .value_kind:     by_value
      - .offset:         16
        .size:           8
        .value_kind:     by_value
      - .offset:         24
        .size:           8
        .value_kind:     by_value
      - .actual_access:  read_only
        .address_space:  global
        .offset:         32
        .size:           8
        .value_kind:     global_buffer
      - .offset:         40
        .size:           8
        .value_kind:     by_value
      - .offset:         48
        .size:           8
        .value_kind:     by_value
      - .offset:         56
        .size:           8
        .value_kind:     by_value
      - .actual_access:  read_only
        .address_space:  global
        .offset:         64
        .size:           8
        .value_kind:     global_buffer
      - .offset:         72
        .size:           8
        .value_kind:     by_value
      - .offset:         80
        .size:           8
        .value_kind:     by_value
      - .offset:         88
        .size:           8
        .value_kind:     by_value
      - .actual_access:  read_only
        .address_space:  global
        .offset:         96
        .size:           8
        .value_kind:     global_buffer
      - .offset:         104
        .size:           8
        .value_kind:     by_value
      - .offset:         112
        .size:           8
        .value_kind:     by_value
      - .offset:         120
        .size:           8
        .value_kind:     by_value
      - .offset:         128
        .size:           4
        .value_kind:     by_value
    .group_segment_fixed_size: 0
    .kernarg_segment_align: 8
    .kernarg_segment_size: 132
    .language:       OpenCL C
    .language_version:
      - 2
      - 0
    .max_flat_workgroup_size: 1024
    .name:           _ZL34rocblas_ger_double_buffered_kernelILb0ELi64ELi16ELi2E19rocblas_complex_numIfE24rocblas_internal_val_ptrIS1_EPKPKS1_PKPS1_EvbiiT4_lT5_lllSC_lllT6_lmli
    .private_segment_fixed_size: 0
    .sgpr_count:     42
    .sgpr_spill_count: 0
    .symbol:         _ZL34rocblas_ger_double_buffered_kernelILb0ELi64ELi16ELi2E19rocblas_complex_numIfE24rocblas_internal_val_ptrIS1_EPKPKS1_PKPS1_EvbiiT4_lT5_lllSC_lllT6_lmli.kd
    .uniform_work_group_size: 1
    .uses_dynamic_stack: false
    .vgpr_count:     38
    .vgpr_spill_count: 0
    .wavefront_size: 32
    .workgroup_processor_mode: 1
  - .args:
      - .offset:         0
        .size:           4
        .value_kind:     by_value
      - .offset:         4
        .size:           4
        .value_kind:     by_value
      - .address_space:  global
        .offset:         8
        .size:           8
        .value_kind:     global_buffer
      - .offset:         16
        .size:           8
        .value_kind:     by_value
      - .address_space:  global
        .offset:         24
        .size:           8
        .value_kind:     global_buffer
      - .offset:         32
        .size:           8
        .value_kind:     by_value
      - .offset:         40
        .size:           8
        .value_kind:     by_value
      - .offset:         48
        .size:           8
        .value_kind:     by_value
      - .address_space:  global
        .offset:         56
        .size:           8
        .value_kind:     global_buffer
      - .offset:         64
        .size:           8
        .value_kind:     by_value
      - .offset:         72
        .size:           8
        .value_kind:     by_value
      - .offset:         80
        .size:           8
        .value_kind:     by_value
      - .address_space:  global
        .offset:         88
        .size:           8
        .value_kind:     global_buffer
      - .offset:         96
        .size:           8
        .value_kind:     by_value
      - .offset:         104
        .size:           8
        .value_kind:     by_value
      - .offset:         112
        .size:           8
        .value_kind:     by_value
    .group_segment_fixed_size: 0
    .kernarg_segment_align: 8
    .kernarg_segment_size: 120
    .language:       OpenCL C
    .language_version:
      - 2
      - 0
    .max_flat_workgroup_size: 256
    .name:           _ZL26rocblas_sger_gfx942_kernelILi256E19rocblas_complex_numIfEPKS1_PKS3_PKPS1_EviiT1_lT2_lllSA_lllT3_lll
    .private_segment_fixed_size: 0
    .sgpr_count:     0
    .sgpr_spill_count: 0
    .symbol:         _ZL26rocblas_sger_gfx942_kernelILi256E19rocblas_complex_numIfEPKS1_PKS3_PKPS1_EviiT1_lT2_lllSA_lllT3_lll.kd
    .uniform_work_group_size: 1
    .uses_dynamic_stack: false
    .vgpr_count:     0
    .vgpr_spill_count: 0
    .wavefront_size: 32
    .workgroup_processor_mode: 1
  - .args:
      - .offset:         0
        .size:           4
        .value_kind:     by_value
      - .offset:         4
        .size:           4
        .value_kind:     by_value
      - .offset:         8
        .size:           8
        .value_kind:     by_value
      - .offset:         16
        .size:           8
        .value_kind:     by_value
      - .address_space:  global
        .offset:         24
        .size:           8
        .value_kind:     global_buffer
      - .offset:         32
        .size:           8
        .value_kind:     by_value
      - .offset:         40
        .size:           8
        .value_kind:     by_value
      - .offset:         48
        .size:           8
        .value_kind:     by_value
      - .address_space:  global
        .offset:         56
        .size:           8
        .value_kind:     global_buffer
      - .offset:         64
        .size:           8
        .value_kind:     by_value
      - .offset:         72
        .size:           8
        .value_kind:     by_value
      - .offset:         80
        .size:           8
        .value_kind:     by_value
      - .address_space:  global
        .offset:         88
        .size:           8
        .value_kind:     global_buffer
      - .offset:         96
        .size:           8
        .value_kind:     by_value
      - .offset:         104
        .size:           8
        .value_kind:     by_value
      - .offset:         112
        .size:           8
        .value_kind:     by_value
    .group_segment_fixed_size: 0
    .kernarg_segment_align: 8
    .kernarg_segment_size: 120
    .language:       OpenCL C
    .language_version:
      - 2
      - 0
    .max_flat_workgroup_size: 256
    .name:           _ZL26rocblas_sger_gfx942_kernelILi256E19rocblas_complex_numIfES1_PKPKS1_PKPS1_EviiT1_lT2_lllSA_lllT3_lll
    .private_segment_fixed_size: 0
    .sgpr_count:     0
    .sgpr_spill_count: 0
    .symbol:         _ZL26rocblas_sger_gfx942_kernelILi256E19rocblas_complex_numIfES1_PKPKS1_PKPS1_EviiT1_lT2_lllSA_lllT3_lll.kd
    .uniform_work_group_size: 1
    .uses_dynamic_stack: false
    .vgpr_count:     0
    .vgpr_spill_count: 0
    .wavefront_size: 32
    .workgroup_processor_mode: 1
  - .args:
      - .offset:         0
        .size:           4
        .value_kind:     by_value
      - .offset:         4
        .size:           4
        .value_kind:     by_value
      - .address_space:  global
        .offset:         8
        .size:           8
        .value_kind:     global_buffer
      - .offset:         16
        .size:           8
        .value_kind:     by_value
      - .actual_access:  read_only
        .address_space:  global
        .offset:         24
        .size:           8
        .value_kind:     global_buffer
      - .offset:         32
        .size:           8
        .value_kind:     by_value
      - .offset:         40
        .size:           8
        .value_kind:     by_value
      - .offset:         48
        .size:           8
        .value_kind:     by_value
      - .actual_access:  read_only
        .address_space:  global
        .offset:         56
        .size:           8
        .value_kind:     global_buffer
      - .offset:         64
        .size:           8
        .value_kind:     by_value
      - .offset:         72
        .size:           8
        .value_kind:     by_value
      - .offset:         80
        .size:           8
        .value_kind:     by_value
      - .actual_access:  read_only
        .address_space:  global
        .offset:         88
        .size:           8
        .value_kind:     global_buffer
      - .offset:         96
        .size:           8
        .value_kind:     by_value
      - .offset:         104
        .size:           8
        .value_kind:     by_value
      - .offset:         112
        .size:           8
        .value_kind:     by_value
      - .offset:         120
        .size:           4
        .value_kind:     by_value
    .group_segment_fixed_size: 0
    .kernarg_segment_align: 8
    .kernarg_segment_size: 124
    .language:       OpenCL C
    .language_version:
      - 2
      - 0
    .max_flat_workgroup_size: 1024
    .name:           _ZL19rocblas_sger_kernelILi1024E19rocblas_complex_numIfEPKS1_PKS3_PKPS1_EviiT1_lT2_lllSA_lllT3_lmli
    .private_segment_fixed_size: 0
    .sgpr_count:     34
    .sgpr_spill_count: 0
    .symbol:         _ZL19rocblas_sger_kernelILi1024E19rocblas_complex_numIfEPKS1_PKS3_PKPS1_EviiT1_lT2_lllSA_lllT3_lmli.kd
    .uniform_work_group_size: 1
    .uses_dynamic_stack: false
    .vgpr_count:     18
    .vgpr_spill_count: 0
    .wavefront_size: 32
    .workgroup_processor_mode: 1
  - .args:
      - .offset:         0
        .size:           4
        .value_kind:     by_value
      - .offset:         4
        .size:           4
        .value_kind:     by_value
      - .offset:         8
        .size:           8
        .value_kind:     by_value
      - .offset:         16
        .size:           8
        .value_kind:     by_value
      - .actual_access:  read_only
        .address_space:  global
        .offset:         24
        .size:           8
        .value_kind:     global_buffer
      - .offset:         32
        .size:           8
        .value_kind:     by_value
      - .offset:         40
        .size:           8
        .value_kind:     by_value
      - .offset:         48
        .size:           8
        .value_kind:     by_value
      - .actual_access:  read_only
        .address_space:  global
        .offset:         56
        .size:           8
        .value_kind:     global_buffer
      - .offset:         64
        .size:           8
        .value_kind:     by_value
      - .offset:         72
        .size:           8
        .value_kind:     by_value
      - .offset:         80
        .size:           8
        .value_kind:     by_value
      - .actual_access:  read_only
        .address_space:  global
        .offset:         88
        .size:           8
        .value_kind:     global_buffer
      - .offset:         96
        .size:           8
        .value_kind:     by_value
      - .offset:         104
        .size:           8
        .value_kind:     by_value
      - .offset:         112
        .size:           8
        .value_kind:     by_value
      - .offset:         120
        .size:           4
        .value_kind:     by_value
    .group_segment_fixed_size: 0
    .kernarg_segment_align: 8
    .kernarg_segment_size: 124
    .language:       OpenCL C
    .language_version:
      - 2
      - 0
    .max_flat_workgroup_size: 1024
    .name:           _ZL19rocblas_sger_kernelILi1024E19rocblas_complex_numIfES1_PKPKS1_PKPS1_EviiT1_lT2_lllSA_lllT3_lmli
    .private_segment_fixed_size: 0
    .sgpr_count:     36
    .sgpr_spill_count: 0
    .symbol:         _ZL19rocblas_sger_kernelILi1024E19rocblas_complex_numIfES1_PKPKS1_PKPS1_EviiT1_lT2_lllSA_lllT3_lmli.kd
    .uniform_work_group_size: 1
    .uses_dynamic_stack: false
    .vgpr_count:     17
    .vgpr_spill_count: 0
    .wavefront_size: 32
    .workgroup_processor_mode: 1
  - .args:
      - .offset:         0
        .size:           4
        .value_kind:     by_value
      - .offset:         4
        .size:           4
        .value_kind:     by_value
      - .address_space:  global
        .offset:         8
        .size:           8
        .value_kind:     global_buffer
      - .offset:         16
        .size:           8
        .value_kind:     by_value
      - .actual_access:  read_only
        .address_space:  global
        .offset:         24
        .size:           8
        .value_kind:     global_buffer
      - .offset:         32
        .size:           8
        .value_kind:     by_value
      - .offset:         40
        .size:           8
        .value_kind:     by_value
      - .offset:         48
        .size:           8
        .value_kind:     by_value
      - .actual_access:  read_only
        .address_space:  global
        .offset:         56
        .size:           8
        .value_kind:     global_buffer
      - .offset:         64
        .size:           8
        .value_kind:     by_value
      - .offset:         72
        .size:           8
        .value_kind:     by_value
      - .offset:         80
        .size:           8
        .value_kind:     by_value
      - .actual_access:  read_only
        .address_space:  global
        .offset:         88
        .size:           8
        .value_kind:     global_buffer
      - .offset:         96
        .size:           8
        .value_kind:     by_value
      - .offset:         104
        .size:           8
        .value_kind:     by_value
      - .offset:         112
        .size:           8
        .value_kind:     by_value
      - .offset:         120
        .size:           4
        .value_kind:     by_value
    .group_segment_fixed_size: 768
    .kernarg_segment_align: 8
    .kernarg_segment_size: 124
    .language:       OpenCL C
    .language_version:
      - 2
      - 0
    .max_flat_workgroup_size: 1024
    .name:           _ZL18rocblas_ger_kernelILi32ELi32ELi2ELb0E19rocblas_complex_numIfEPKS1_PKS3_PKPS1_EviiT4_lT5_lllSA_lllT6_lmli
    .private_segment_fixed_size: 0
    .sgpr_count:     38
    .sgpr_spill_count: 0
    .symbol:         _ZL18rocblas_ger_kernelILi32ELi32ELi2ELb0E19rocblas_complex_numIfEPKS1_PKS3_PKPS1_EviiT4_lT5_lllSA_lllT6_lmli.kd
    .uniform_work_group_size: 1
    .uses_dynamic_stack: false
    .vgpr_count:     25
    .vgpr_spill_count: 0
    .wavefront_size: 32
    .workgroup_processor_mode: 1
  - .args:
      - .offset:         0
        .size:           4
        .value_kind:     by_value
      - .offset:         4
        .size:           4
        .value_kind:     by_value
      - .offset:         8
        .size:           8
        .value_kind:     by_value
      - .offset:         16
        .size:           8
        .value_kind:     by_value
      - .actual_access:  read_only
        .address_space:  global
        .offset:         24
        .size:           8
        .value_kind:     global_buffer
      - .offset:         32
        .size:           8
        .value_kind:     by_value
      - .offset:         40
        .size:           8
        .value_kind:     by_value
      - .offset:         48
        .size:           8
        .value_kind:     by_value
      - .actual_access:  read_only
        .address_space:  global
        .offset:         56
        .size:           8
        .value_kind:     global_buffer
      - .offset:         64
        .size:           8
        .value_kind:     by_value
      - .offset:         72
        .size:           8
        .value_kind:     by_value
      - .offset:         80
        .size:           8
        .value_kind:     by_value
      - .actual_access:  read_only
        .address_space:  global
        .offset:         88
        .size:           8
        .value_kind:     global_buffer
      - .offset:         96
        .size:           8
        .value_kind:     by_value
      - .offset:         104
        .size:           8
        .value_kind:     by_value
      - .offset:         112
        .size:           8
        .value_kind:     by_value
      - .offset:         120
        .size:           4
        .value_kind:     by_value
    .group_segment_fixed_size: 768
    .kernarg_segment_align: 8
    .kernarg_segment_size: 124
    .language:       OpenCL C
    .language_version:
      - 2
      - 0
    .max_flat_workgroup_size: 1024
    .name:           _ZL18rocblas_ger_kernelILi32ELi32ELi2ELb0E19rocblas_complex_numIfES1_PKPKS1_PKPS1_EviiT4_lT5_lllSA_lllT6_lmli
    .private_segment_fixed_size: 0
    .sgpr_count:     34
    .sgpr_spill_count: 0
    .symbol:         _ZL18rocblas_ger_kernelILi32ELi32ELi2ELb0E19rocblas_complex_numIfES1_PKPKS1_PKPS1_EviiT4_lT5_lllSA_lllT6_lmli.kd
    .uniform_work_group_size: 1
    .uses_dynamic_stack: false
    .vgpr_count:     24
    .vgpr_spill_count: 0
    .wavefront_size: 32
    .workgroup_processor_mode: 1
  - .args:
      - .offset:         0
        .size:           1
        .value_kind:     by_value
      - .offset:         4
        .size:           4
        .value_kind:     by_value
      - .offset:         8
        .size:           4
        .value_kind:     by_value
      - .offset:         16
        .size:           16
        .value_kind:     by_value
      - .offset:         32
        .size:           8
        .value_kind:     by_value
      - .actual_access:  read_only
        .address_space:  global
        .offset:         40
        .size:           8
        .value_kind:     global_buffer
      - .offset:         48
        .size:           8
        .value_kind:     by_value
      - .offset:         56
        .size:           8
        .value_kind:     by_value
      - .offset:         64
        .size:           8
        .value_kind:     by_value
      - .actual_access:  read_only
        .address_space:  global
        .offset:         72
        .size:           8
        .value_kind:     global_buffer
      - .offset:         80
        .size:           8
        .value_kind:     by_value
      - .offset:         88
        .size:           8
        .value_kind:     by_value
      - .offset:         96
        .size:           8
        .value_kind:     by_value
      - .actual_access:  read_only
        .address_space:  global
        .offset:         104
        .size:           8
        .value_kind:     global_buffer
      - .offset:         112
        .size:           8
        .value_kind:     by_value
      - .offset:         120
        .size:           8
        .value_kind:     by_value
      - .offset:         128
        .size:           8
        .value_kind:     by_value
      - .offset:         136
        .size:           4
        .value_kind:     by_value
    .group_segment_fixed_size: 0
    .kernarg_segment_align: 8
    .kernarg_segment_size: 140
    .language:       OpenCL C
    .language_version:
      - 2
      - 0
    .max_flat_workgroup_size: 1024
    .name:           _ZL34rocblas_ger_double_buffered_kernelILb0ELi64ELi16ELi2E19rocblas_complex_numIdE24rocblas_internal_val_ptrIS1_EPKPKS1_PKPS1_EvbiiT4_lT5_lllSC_lllT6_lmli
    .private_segment_fixed_size: 0
    .sgpr_count:     41
    .sgpr_spill_count: 0
    .symbol:         _ZL34rocblas_ger_double_buffered_kernelILb0ELi64ELi16ELi2E19rocblas_complex_numIdE24rocblas_internal_val_ptrIS1_EPKPKS1_PKPS1_EvbiiT4_lT5_lllSC_lllT6_lmli.kd
    .uniform_work_group_size: 1
    .uses_dynamic_stack: false
    .vgpr_count:     60
    .vgpr_spill_count: 0
    .wavefront_size: 32
    .workgroup_processor_mode: 1
  - .args:
      - .offset:         0
        .size:           4
        .value_kind:     by_value
      - .offset:         4
        .size:           4
        .value_kind:     by_value
      - .address_space:  global
        .offset:         8
        .size:           8
        .value_kind:     global_buffer
      - .offset:         16
        .size:           8
        .value_kind:     by_value
      - .address_space:  global
        .offset:         24
        .size:           8
        .value_kind:     global_buffer
      - .offset:         32
        .size:           8
        .value_kind:     by_value
      - .offset:         40
        .size:           8
        .value_kind:     by_value
      - .offset:         48
        .size:           8
        .value_kind:     by_value
      - .address_space:  global
        .offset:         56
        .size:           8
        .value_kind:     global_buffer
      - .offset:         64
        .size:           8
        .value_kind:     by_value
      - .offset:         72
        .size:           8
        .value_kind:     by_value
      - .offset:         80
        .size:           8
        .value_kind:     by_value
      - .address_space:  global
        .offset:         88
        .size:           8
        .value_kind:     global_buffer
      - .offset:         96
        .size:           8
        .value_kind:     by_value
      - .offset:         104
        .size:           8
        .value_kind:     by_value
      - .offset:         112
        .size:           8
        .value_kind:     by_value
    .group_segment_fixed_size: 0
    .kernarg_segment_align: 8
    .kernarg_segment_size: 120
    .language:       OpenCL C
    .language_version:
      - 2
      - 0
    .max_flat_workgroup_size: 256
    .name:           _ZL26rocblas_sger_gfx942_kernelILi256E19rocblas_complex_numIdEPKS1_PKS3_PKPS1_EviiT1_lT2_lllSA_lllT3_lll
    .private_segment_fixed_size: 0
    .sgpr_count:     0
    .sgpr_spill_count: 0
    .symbol:         _ZL26rocblas_sger_gfx942_kernelILi256E19rocblas_complex_numIdEPKS1_PKS3_PKPS1_EviiT1_lT2_lllSA_lllT3_lll.kd
    .uniform_work_group_size: 1
    .uses_dynamic_stack: false
    .vgpr_count:     0
    .vgpr_spill_count: 0
    .wavefront_size: 32
    .workgroup_processor_mode: 1
  - .args:
      - .offset:         0
        .size:           4
        .value_kind:     by_value
      - .offset:         4
        .size:           4
        .value_kind:     by_value
      - .offset:         8
        .size:           16
        .value_kind:     by_value
      - .offset:         24
        .size:           8
        .value_kind:     by_value
      - .address_space:  global
        .offset:         32
        .size:           8
        .value_kind:     global_buffer
      - .offset:         40
        .size:           8
        .value_kind:     by_value
      - .offset:         48
        .size:           8
        .value_kind:     by_value
      - .offset:         56
        .size:           8
        .value_kind:     by_value
      - .address_space:  global
        .offset:         64
        .size:           8
        .value_kind:     global_buffer
      - .offset:         72
        .size:           8
        .value_kind:     by_value
      - .offset:         80
        .size:           8
        .value_kind:     by_value
      - .offset:         88
        .size:           8
        .value_kind:     by_value
      - .address_space:  global
        .offset:         96
        .size:           8
        .value_kind:     global_buffer
      - .offset:         104
        .size:           8
        .value_kind:     by_value
      - .offset:         112
        .size:           8
        .value_kind:     by_value
      - .offset:         120
        .size:           8
        .value_kind:     by_value
    .group_segment_fixed_size: 0
    .kernarg_segment_align: 8
    .kernarg_segment_size: 128
    .language:       OpenCL C
    .language_version:
      - 2
      - 0
    .max_flat_workgroup_size: 256
    .name:           _ZL26rocblas_sger_gfx942_kernelILi256E19rocblas_complex_numIdES1_PKPKS1_PKPS1_EviiT1_lT2_lllSA_lllT3_lll
    .private_segment_fixed_size: 0
    .sgpr_count:     0
    .sgpr_spill_count: 0
    .symbol:         _ZL26rocblas_sger_gfx942_kernelILi256E19rocblas_complex_numIdES1_PKPKS1_PKPS1_EviiT1_lT2_lllSA_lllT3_lll.kd
    .uniform_work_group_size: 1
    .uses_dynamic_stack: false
    .vgpr_count:     0
    .vgpr_spill_count: 0
    .wavefront_size: 32
    .workgroup_processor_mode: 1
  - .args:
      - .offset:         0
        .size:           4
        .value_kind:     by_value
      - .offset:         4
        .size:           4
        .value_kind:     by_value
      - .address_space:  global
        .offset:         8
        .size:           8
        .value_kind:     global_buffer
      - .offset:         16
        .size:           8
        .value_kind:     by_value
      - .actual_access:  read_only
        .address_space:  global
        .offset:         24
        .size:           8
        .value_kind:     global_buffer
      - .offset:         32
        .size:           8
        .value_kind:     by_value
      - .offset:         40
        .size:           8
        .value_kind:     by_value
      - .offset:         48
        .size:           8
        .value_kind:     by_value
      - .actual_access:  read_only
        .address_space:  global
        .offset:         56
        .size:           8
        .value_kind:     global_buffer
      - .offset:         64
        .size:           8
        .value_kind:     by_value
      - .offset:         72
        .size:           8
        .value_kind:     by_value
      - .offset:         80
        .size:           8
        .value_kind:     by_value
      - .actual_access:  read_only
        .address_space:  global
        .offset:         88
        .size:           8
        .value_kind:     global_buffer
      - .offset:         96
        .size:           8
        .value_kind:     by_value
      - .offset:         104
        .size:           8
        .value_kind:     by_value
      - .offset:         112
        .size:           8
        .value_kind:     by_value
      - .offset:         120
        .size:           4
        .value_kind:     by_value
    .group_segment_fixed_size: 0
    .kernarg_segment_align: 8
    .kernarg_segment_size: 124
    .language:       OpenCL C
    .language_version:
      - 2
      - 0
    .max_flat_workgroup_size: 1024
    .name:           _ZL19rocblas_sger_kernelILi1024E19rocblas_complex_numIdEPKS1_PKS3_PKPS1_EviiT1_lT2_lllSA_lllT3_lmli
    .private_segment_fixed_size: 0
    .sgpr_count:     34
    .sgpr_spill_count: 0
    .symbol:         _ZL19rocblas_sger_kernelILi1024E19rocblas_complex_numIdEPKS1_PKS3_PKPS1_EviiT1_lT2_lllSA_lllT3_lmli.kd
    .uniform_work_group_size: 1
    .uses_dynamic_stack: false
    .vgpr_count:     25
    .vgpr_spill_count: 0
    .wavefront_size: 32
    .workgroup_processor_mode: 1
  - .args:
      - .offset:         0
        .size:           4
        .value_kind:     by_value
      - .offset:         4
        .size:           4
        .value_kind:     by_value
      - .offset:         8
        .size:           16
        .value_kind:     by_value
      - .offset:         24
        .size:           8
        .value_kind:     by_value
      - .actual_access:  read_only
        .address_space:  global
        .offset:         32
        .size:           8
        .value_kind:     global_buffer
      - .offset:         40
        .size:           8
        .value_kind:     by_value
      - .offset:         48
        .size:           8
        .value_kind:     by_value
      - .offset:         56
        .size:           8
        .value_kind:     by_value
      - .actual_access:  read_only
        .address_space:  global
        .offset:         64
        .size:           8
        .value_kind:     global_buffer
      - .offset:         72
        .size:           8
        .value_kind:     by_value
      - .offset:         80
        .size:           8
        .value_kind:     by_value
      - .offset:         88
        .size:           8
        .value_kind:     by_value
      - .actual_access:  read_only
        .address_space:  global
        .offset:         96
        .size:           8
        .value_kind:     global_buffer
      - .offset:         104
        .size:           8
        .value_kind:     by_value
      - .offset:         112
        .size:           8
        .value_kind:     by_value
      - .offset:         120
        .size:           8
        .value_kind:     by_value
      - .offset:         128
        .size:           4
        .value_kind:     by_value
    .group_segment_fixed_size: 0
    .kernarg_segment_align: 8
    .kernarg_segment_size: 132
    .language:       OpenCL C
    .language_version:
      - 2
      - 0
    .max_flat_workgroup_size: 1024
    .name:           _ZL19rocblas_sger_kernelILi1024E19rocblas_complex_numIdES1_PKPKS1_PKPS1_EviiT1_lT2_lllSA_lllT3_lmli
    .private_segment_fixed_size: 0
    .sgpr_count:     37
    .sgpr_spill_count: 0
    .symbol:         _ZL19rocblas_sger_kernelILi1024E19rocblas_complex_numIdES1_PKPKS1_PKPS1_EviiT1_lT2_lllSA_lllT3_lmli.kd
    .uniform_work_group_size: 1
    .uses_dynamic_stack: false
    .vgpr_count:     24
    .vgpr_spill_count: 0
    .wavefront_size: 32
    .workgroup_processor_mode: 1
  - .args:
      - .offset:         0
        .size:           4
        .value_kind:     by_value
      - .offset:         4
        .size:           4
        .value_kind:     by_value
      - .address_space:  global
        .offset:         8
        .size:           8
        .value_kind:     global_buffer
      - .offset:         16
        .size:           8
        .value_kind:     by_value
      - .actual_access:  read_only
        .address_space:  global
        .offset:         24
        .size:           8
        .value_kind:     global_buffer
      - .offset:         32
        .size:           8
        .value_kind:     by_value
      - .offset:         40
        .size:           8
        .value_kind:     by_value
      - .offset:         48
        .size:           8
        .value_kind:     by_value
      - .actual_access:  read_only
        .address_space:  global
        .offset:         56
        .size:           8
        .value_kind:     global_buffer
      - .offset:         64
        .size:           8
        .value_kind:     by_value
      - .offset:         72
        .size:           8
        .value_kind:     by_value
      - .offset:         80
        .size:           8
        .value_kind:     by_value
      - .actual_access:  read_only
        .address_space:  global
        .offset:         88
        .size:           8
        .value_kind:     global_buffer
      - .offset:         96
        .size:           8
        .value_kind:     by_value
      - .offset:         104
        .size:           8
        .value_kind:     by_value
      - .offset:         112
        .size:           8
        .value_kind:     by_value
      - .offset:         120
        .size:           4
        .value_kind:     by_value
    .group_segment_fixed_size: 1536
    .kernarg_segment_align: 8
    .kernarg_segment_size: 124
    .language:       OpenCL C
    .language_version:
      - 2
      - 0
    .max_flat_workgroup_size: 1024
    .name:           _ZL18rocblas_ger_kernelILi32ELi32ELi2ELb0E19rocblas_complex_numIdEPKS1_PKS3_PKPS1_EviiT4_lT5_lllSA_lllT6_lmli
    .private_segment_fixed_size: 0
    .sgpr_count:     36
    .sgpr_spill_count: 0
    .symbol:         _ZL18rocblas_ger_kernelILi32ELi32ELi2ELb0E19rocblas_complex_numIdEPKS1_PKS3_PKPS1_EviiT4_lT5_lllSA_lllT6_lmli.kd
    .uniform_work_group_size: 1
    .uses_dynamic_stack: false
    .vgpr_count:     32
    .vgpr_spill_count: 0
    .wavefront_size: 32
    .workgroup_processor_mode: 1
  - .args:
      - .offset:         0
        .size:           4
        .value_kind:     by_value
      - .offset:         4
        .size:           4
        .value_kind:     by_value
      - .offset:         8
        .size:           16
        .value_kind:     by_value
      - .offset:         24
        .size:           8
        .value_kind:     by_value
      - .actual_access:  read_only
        .address_space:  global
        .offset:         32
        .size:           8
        .value_kind:     global_buffer
      - .offset:         40
        .size:           8
        .value_kind:     by_value
      - .offset:         48
        .size:           8
        .value_kind:     by_value
      - .offset:         56
        .size:           8
        .value_kind:     by_value
      - .actual_access:  read_only
        .address_space:  global
        .offset:         64
        .size:           8
        .value_kind:     global_buffer
      - .offset:         72
        .size:           8
        .value_kind:     by_value
      - .offset:         80
        .size:           8
        .value_kind:     by_value
      - .offset:         88
        .size:           8
        .value_kind:     by_value
      - .actual_access:  read_only
        .address_space:  global
        .offset:         96
        .size:           8
        .value_kind:     global_buffer
      - .offset:         104
        .size:           8
        .value_kind:     by_value
      - .offset:         112
        .size:           8
        .value_kind:     by_value
      - .offset:         120
        .size:           8
        .value_kind:     by_value
      - .offset:         128
        .size:           4
        .value_kind:     by_value
    .group_segment_fixed_size: 1536
    .kernarg_segment_align: 8
    .kernarg_segment_size: 132
    .language:       OpenCL C
    .language_version:
      - 2
      - 0
    .max_flat_workgroup_size: 1024
    .name:           _ZL18rocblas_ger_kernelILi32ELi32ELi2ELb0E19rocblas_complex_numIdES1_PKPKS1_PKPS1_EviiT4_lT5_lllSA_lllT6_lmli
    .private_segment_fixed_size: 0
    .sgpr_count:     38
    .sgpr_spill_count: 0
    .symbol:         _ZL18rocblas_ger_kernelILi32ELi32ELi2ELb0E19rocblas_complex_numIdES1_PKPKS1_PKPS1_EviiT4_lT5_lllSA_lllT6_lmli.kd
    .uniform_work_group_size: 1
    .uses_dynamic_stack: false
    .vgpr_count:     31
    .vgpr_spill_count: 0
    .wavefront_size: 32
    .workgroup_processor_mode: 1
  - .args:
      - .offset:         0
        .size:           1
        .value_kind:     by_value
      - .offset:         4
        .size:           4
        .value_kind:     by_value
      - .offset:         8
        .size:           4
        .value_kind:     by_value
      - .offset:         16
        .size:           8
        .value_kind:     by_value
      - .offset:         24
        .size:           8
        .value_kind:     by_value
      - .actual_access:  read_only
        .address_space:  global
        .offset:         32
        .size:           8
        .value_kind:     global_buffer
      - .offset:         40
        .size:           8
        .value_kind:     by_value
      - .offset:         48
        .size:           8
        .value_kind:     by_value
      - .offset:         56
        .size:           8
        .value_kind:     by_value
      - .actual_access:  read_only
        .address_space:  global
        .offset:         64
        .size:           8
        .value_kind:     global_buffer
      - .offset:         72
        .size:           8
        .value_kind:     by_value
      - .offset:         80
        .size:           8
        .value_kind:     by_value
      - .offset:         88
        .size:           8
        .value_kind:     by_value
      - .actual_access:  read_only
        .address_space:  global
        .offset:         96
        .size:           8
        .value_kind:     global_buffer
      - .offset:         104
        .size:           8
        .value_kind:     by_value
      - .offset:         112
        .size:           8
        .value_kind:     by_value
      - .offset:         120
        .size:           8
        .value_kind:     by_value
      - .offset:         128
        .size:           4
        .value_kind:     by_value
    .group_segment_fixed_size: 0
    .kernarg_segment_align: 8
    .kernarg_segment_size: 132
    .language:       OpenCL C
    .language_version:
      - 2
      - 0
    .max_flat_workgroup_size: 1024
    .name:           _ZL34rocblas_ger_double_buffered_kernelILb1ELi64ELi16ELi2E19rocblas_complex_numIfE24rocblas_internal_val_ptrIS1_EPKPKS1_PKPS1_EvbiiT4_lT5_lllSC_lllT6_lmli
    .private_segment_fixed_size: 0
    .sgpr_count:     42
    .sgpr_spill_count: 0
    .symbol:         _ZL34rocblas_ger_double_buffered_kernelILb1ELi64ELi16ELi2E19rocblas_complex_numIfE24rocblas_internal_val_ptrIS1_EPKPKS1_PKPS1_EvbiiT4_lT5_lllSC_lllT6_lmli.kd
    .uniform_work_group_size: 1
    .uses_dynamic_stack: false
    .vgpr_count:     38
    .vgpr_spill_count: 0
    .wavefront_size: 32
    .workgroup_processor_mode: 1
  - .args:
      - .offset:         0
        .size:           4
        .value_kind:     by_value
      - .offset:         4
        .size:           4
        .value_kind:     by_value
      - .address_space:  global
        .offset:         8
        .size:           8
        .value_kind:     global_buffer
      - .offset:         16
        .size:           8
        .value_kind:     by_value
      - .actual_access:  read_only
        .address_space:  global
        .offset:         24
        .size:           8
        .value_kind:     global_buffer
      - .offset:         32
        .size:           8
        .value_kind:     by_value
      - .offset:         40
        .size:           8
        .value_kind:     by_value
      - .offset:         48
        .size:           8
        .value_kind:     by_value
      - .actual_access:  read_only
        .address_space:  global
        .offset:         56
        .size:           8
        .value_kind:     global_buffer
      - .offset:         64
        .size:           8
        .value_kind:     by_value
      - .offset:         72
        .size:           8
        .value_kind:     by_value
      - .offset:         80
        .size:           8
        .value_kind:     by_value
      - .actual_access:  read_only
        .address_space:  global
        .offset:         88
        .size:           8
        .value_kind:     global_buffer
      - .offset:         96
        .size:           8
        .value_kind:     by_value
      - .offset:         104
        .size:           8
        .value_kind:     by_value
      - .offset:         112
        .size:           8
        .value_kind:     by_value
      - .offset:         120
        .size:           4
        .value_kind:     by_value
    .group_segment_fixed_size: 768
    .kernarg_segment_align: 8
    .kernarg_segment_size: 124
    .language:       OpenCL C
    .language_version:
      - 2
      - 0
    .max_flat_workgroup_size: 1024
    .name:           _ZL18rocblas_ger_kernelILi32ELi32ELi2ELb1E19rocblas_complex_numIfEPKS1_PKS3_PKPS1_EviiT4_lT5_lllSA_lllT6_lmli
    .private_segment_fixed_size: 0
    .sgpr_count:     38
    .sgpr_spill_count: 0
    .symbol:         _ZL18rocblas_ger_kernelILi32ELi32ELi2ELb1E19rocblas_complex_numIfEPKS1_PKS3_PKPS1_EviiT4_lT5_lllSA_lllT6_lmli.kd
    .uniform_work_group_size: 1
    .uses_dynamic_stack: false
    .vgpr_count:     25
    .vgpr_spill_count: 0
    .wavefront_size: 32
    .workgroup_processor_mode: 1
  - .args:
      - .offset:         0
        .size:           4
        .value_kind:     by_value
      - .offset:         4
        .size:           4
        .value_kind:     by_value
      - .offset:         8
        .size:           8
        .value_kind:     by_value
      - .offset:         16
        .size:           8
        .value_kind:     by_value
      - .actual_access:  read_only
        .address_space:  global
        .offset:         24
        .size:           8
        .value_kind:     global_buffer
      - .offset:         32
        .size:           8
        .value_kind:     by_value
      - .offset:         40
        .size:           8
        .value_kind:     by_value
      - .offset:         48
        .size:           8
        .value_kind:     by_value
      - .actual_access:  read_only
        .address_space:  global
        .offset:         56
        .size:           8
        .value_kind:     global_buffer
      - .offset:         64
        .size:           8
        .value_kind:     by_value
      - .offset:         72
        .size:           8
        .value_kind:     by_value
      - .offset:         80
        .size:           8
        .value_kind:     by_value
      - .actual_access:  read_only
        .address_space:  global
        .offset:         88
        .size:           8
        .value_kind:     global_buffer
      - .offset:         96
        .size:           8
        .value_kind:     by_value
      - .offset:         104
        .size:           8
        .value_kind:     by_value
      - .offset:         112
        .size:           8
        .value_kind:     by_value
      - .offset:         120
        .size:           4
        .value_kind:     by_value
    .group_segment_fixed_size: 768
    .kernarg_segment_align: 8
    .kernarg_segment_size: 124
    .language:       OpenCL C
    .language_version:
      - 2
      - 0
    .max_flat_workgroup_size: 1024
    .name:           _ZL18rocblas_ger_kernelILi32ELi32ELi2ELb1E19rocblas_complex_numIfES1_PKPKS1_PKPS1_EviiT4_lT5_lllSA_lllT6_lmli
    .private_segment_fixed_size: 0
    .sgpr_count:     34
    .sgpr_spill_count: 0
    .symbol:         _ZL18rocblas_ger_kernelILi32ELi32ELi2ELb1E19rocblas_complex_numIfES1_PKPKS1_PKPS1_EviiT4_lT5_lllSA_lllT6_lmli.kd
    .uniform_work_group_size: 1
    .uses_dynamic_stack: false
    .vgpr_count:     24
    .vgpr_spill_count: 0
    .wavefront_size: 32
    .workgroup_processor_mode: 1
  - .args:
      - .offset:         0
        .size:           1
        .value_kind:     by_value
      - .offset:         4
        .size:           4
        .value_kind:     by_value
      - .offset:         8
        .size:           4
        .value_kind:     by_value
      - .offset:         16
        .size:           16
        .value_kind:     by_value
      - .offset:         32
        .size:           8
        .value_kind:     by_value
      - .actual_access:  read_only
        .address_space:  global
        .offset:         40
        .size:           8
        .value_kind:     global_buffer
      - .offset:         48
        .size:           8
        .value_kind:     by_value
      - .offset:         56
        .size:           8
        .value_kind:     by_value
      - .offset:         64
        .size:           8
        .value_kind:     by_value
      - .actual_access:  read_only
        .address_space:  global
        .offset:         72
        .size:           8
        .value_kind:     global_buffer
      - .offset:         80
        .size:           8
        .value_kind:     by_value
      - .offset:         88
        .size:           8
        .value_kind:     by_value
      - .offset:         96
        .size:           8
        .value_kind:     by_value
      - .actual_access:  read_only
        .address_space:  global
        .offset:         104
        .size:           8
        .value_kind:     global_buffer
      - .offset:         112
        .size:           8
        .value_kind:     by_value
      - .offset:         120
        .size:           8
        .value_kind:     by_value
      - .offset:         128
        .size:           8
        .value_kind:     by_value
      - .offset:         136
        .size:           4
        .value_kind:     by_value
    .group_segment_fixed_size: 0
    .kernarg_segment_align: 8
    .kernarg_segment_size: 140
    .language:       OpenCL C
    .language_version:
      - 2
      - 0
    .max_flat_workgroup_size: 1024
    .name:           _ZL34rocblas_ger_double_buffered_kernelILb1ELi64ELi16ELi2E19rocblas_complex_numIdE24rocblas_internal_val_ptrIS1_EPKPKS1_PKPS1_EvbiiT4_lT5_lllSC_lllT6_lmli
    .private_segment_fixed_size: 0
    .sgpr_count:     41
    .sgpr_spill_count: 0
    .symbol:         _ZL34rocblas_ger_double_buffered_kernelILb1ELi64ELi16ELi2E19rocblas_complex_numIdE24rocblas_internal_val_ptrIS1_EPKPKS1_PKPS1_EvbiiT4_lT5_lllSC_lllT6_lmli.kd
    .uniform_work_group_size: 1
    .uses_dynamic_stack: false
    .vgpr_count:     60
    .vgpr_spill_count: 0
    .wavefront_size: 32
    .workgroup_processor_mode: 1
  - .args:
      - .offset:         0
        .size:           4
        .value_kind:     by_value
      - .offset:         4
        .size:           4
        .value_kind:     by_value
      - .address_space:  global
        .offset:         8
        .size:           8
        .value_kind:     global_buffer
      - .offset:         16
        .size:           8
        .value_kind:     by_value
      - .actual_access:  read_only
        .address_space:  global
        .offset:         24
        .size:           8
        .value_kind:     global_buffer
      - .offset:         32
        .size:           8
        .value_kind:     by_value
      - .offset:         40
        .size:           8
        .value_kind:     by_value
      - .offset:         48
        .size:           8
        .value_kind:     by_value
      - .actual_access:  read_only
        .address_space:  global
        .offset:         56
        .size:           8
        .value_kind:     global_buffer
      - .offset:         64
        .size:           8
        .value_kind:     by_value
      - .offset:         72
        .size:           8
        .value_kind:     by_value
      - .offset:         80
        .size:           8
        .value_kind:     by_value
      - .actual_access:  read_only
        .address_space:  global
        .offset:         88
        .size:           8
        .value_kind:     global_buffer
      - .offset:         96
        .size:           8
        .value_kind:     by_value
      - .offset:         104
        .size:           8
        .value_kind:     by_value
      - .offset:         112
        .size:           8
        .value_kind:     by_value
      - .offset:         120
        .size:           4
        .value_kind:     by_value
    .group_segment_fixed_size: 1536
    .kernarg_segment_align: 8
    .kernarg_segment_size: 124
    .language:       OpenCL C
    .language_version:
      - 2
      - 0
    .max_flat_workgroup_size: 1024
    .name:           _ZL18rocblas_ger_kernelILi32ELi32ELi2ELb1E19rocblas_complex_numIdEPKS1_PKS3_PKPS1_EviiT4_lT5_lllSA_lllT6_lmli
    .private_segment_fixed_size: 0
    .sgpr_count:     36
    .sgpr_spill_count: 0
    .symbol:         _ZL18rocblas_ger_kernelILi32ELi32ELi2ELb1E19rocblas_complex_numIdEPKS1_PKS3_PKPS1_EviiT4_lT5_lllSA_lllT6_lmli.kd
    .uniform_work_group_size: 1
    .uses_dynamic_stack: false
    .vgpr_count:     32
    .vgpr_spill_count: 0
    .wavefront_size: 32
    .workgroup_processor_mode: 1
  - .args:
      - .offset:         0
        .size:           4
        .value_kind:     by_value
      - .offset:         4
        .size:           4
        .value_kind:     by_value
      - .offset:         8
        .size:           16
        .value_kind:     by_value
      - .offset:         24
        .size:           8
        .value_kind:     by_value
      - .actual_access:  read_only
        .address_space:  global
        .offset:         32
        .size:           8
        .value_kind:     global_buffer
      - .offset:         40
        .size:           8
        .value_kind:     by_value
      - .offset:         48
        .size:           8
        .value_kind:     by_value
      - .offset:         56
        .size:           8
        .value_kind:     by_value
      - .actual_access:  read_only
        .address_space:  global
        .offset:         64
        .size:           8
        .value_kind:     global_buffer
      - .offset:         72
        .size:           8
        .value_kind:     by_value
      - .offset:         80
        .size:           8
        .value_kind:     by_value
      - .offset:         88
        .size:           8
        .value_kind:     by_value
      - .actual_access:  read_only
        .address_space:  global
        .offset:         96
        .size:           8
        .value_kind:     global_buffer
      - .offset:         104
        .size:           8
        .value_kind:     by_value
      - .offset:         112
        .size:           8
        .value_kind:     by_value
      - .offset:         120
        .size:           8
        .value_kind:     by_value
      - .offset:         128
        .size:           4
        .value_kind:     by_value
    .group_segment_fixed_size: 1536
    .kernarg_segment_align: 8
    .kernarg_segment_size: 132
    .language:       OpenCL C
    .language_version:
      - 2
      - 0
    .max_flat_workgroup_size: 1024
    .name:           _ZL18rocblas_ger_kernelILi32ELi32ELi2ELb1E19rocblas_complex_numIdES1_PKPKS1_PKPS1_EviiT4_lT5_lllSA_lllT6_lmli
    .private_segment_fixed_size: 0
    .sgpr_count:     38
    .sgpr_spill_count: 0
    .symbol:         _ZL18rocblas_ger_kernelILi32ELi32ELi2ELb1E19rocblas_complex_numIdES1_PKPKS1_PKPS1_EviiT4_lT5_lllSA_lllT6_lmli.kd
    .uniform_work_group_size: 1
    .uses_dynamic_stack: false
    .vgpr_count:     31
    .vgpr_spill_count: 0
    .wavefront_size: 32
    .workgroup_processor_mode: 1
amdhsa.target:   amdgcn-amd-amdhsa--gfx1201
amdhsa.version:
  - 1
  - 2
...

	.end_amdgpu_metadata
